;; amdgpu-corpus repo=zjin-lcf/HeCBench kind=compiled arch=gfx1030 opt=O3
	.amdgcn_target "amdgcn-amd-amdhsa--gfx1030"
	.amdhsa_code_object_version 6
	.section	.text._Z30fast_hadamard_transform_kernelI37fast_hadamard_transform_kernel_traitsILi1ELi3EfEEv18HadamardParamsBase,"axG",@progbits,_Z30fast_hadamard_transform_kernelI37fast_hadamard_transform_kernel_traitsILi1ELi3EfEEv18HadamardParamsBase,comdat
	.protected	_Z30fast_hadamard_transform_kernelI37fast_hadamard_transform_kernel_traitsILi1ELi3EfEEv18HadamardParamsBase ; -- Begin function _Z30fast_hadamard_transform_kernelI37fast_hadamard_transform_kernel_traitsILi1ELi3EfEEv18HadamardParamsBase
	.globl	_Z30fast_hadamard_transform_kernelI37fast_hadamard_transform_kernel_traitsILi1ELi3EfEEv18HadamardParamsBase
	.p2align	8
	.type	_Z30fast_hadamard_transform_kernelI37fast_hadamard_transform_kernel_traitsILi1ELi3EfEEv18HadamardParamsBase,@function
_Z30fast_hadamard_transform_kernelI37fast_hadamard_transform_kernel_traitsILi1ELi3EfEEv18HadamardParamsBase: ; @_Z30fast_hadamard_transform_kernelI37fast_hadamard_transform_kernel_traitsILi1ELi3EfEEv18HadamardParamsBase
; %bb.0:
	s_clause 0x3
	s_load_dwordx4 s[8:11], s[4:5], 0x10
	s_load_dwordx4 s[0:3], s[4:5], 0x28
	s_load_dword s14, s[4:5], 0x4
	s_load_dword s7, s[4:5], 0x44
	s_ashr_i32 s20, s6, 31
	s_mov_b32 s16, 0
	s_mov_b32 s17, 0
	;; [unrolled: 1-line block ×4, first 2 shown]
	s_waitcnt lgkmcnt(0)
	s_mul_hi_u32 s12, s8, s6
	s_mul_i32 s13, s8, s20
	s_mul_i32 s9, s9, s6
	s_add_i32 s12, s12, s13
	s_mul_i32 s8, s8, s6
	s_add_i32 s9, s12, s9
	s_mov_b32 s12, 0
	s_lshl_b64 s[8:9], s[8:9], 2
	s_add_u32 s0, s0, s8
	s_addc_u32 s1, s1, s9
	s_cmp_lg_u32 s14, 0
	s_cselect_b32 s8, -1, 0
	s_cmp_eq_u32 s14, 0
	s_cbranch_scc1 .LBB0_2
; %bb.1:
	s_load_dwordx4 s[16:19], s[0:1], 0x0
.LBB0_2:
	s_and_b32 s7, 0xffff, s7
	s_mov_b32 s13, 0
	s_lshl_b32 s15, s7, 2
	s_cmp_lt_u32 s15, s14
	s_cselect_b32 s9, -1, 0
	s_cmp_ge_u32 s15, s14
	s_mov_b32 s14, 0
	s_mov_b32 s15, 0
	s_cbranch_scc1 .LBB0_4
; %bb.3:
	s_lshl_b32 s12, s7, 4
	s_load_dwordx4 s[12:15], s[0:1], s12 offset:0x0
.LBB0_4:
	s_load_dword s4, s[4:5], 0x20
	s_mul_i32 s0, s10, s20
	s_mul_hi_u32 s1, s10, s6
	s_waitcnt lgkmcnt(0)
	v_add_f32_e64 v0, s16, s17
	v_sub_f32_e64 v5, s16, s17
	v_add_f32_e64 v2, s12, s13
	v_add_f32_e64 v3, s18, s19
	v_sub_f32_e64 v7, s12, s13
	v_add_f32_e64 v4, s14, s15
	v_sub_f32_e64 v6, s18, s19
	v_sub_f32_e64 v8, s14, s15
	s_add_i32 s0, s1, s0
	s_mul_i32 s1, s11, s6
	v_add_f32_e32 v1, v0, v3
	s_add_i32 s1, s0, s1
	s_mul_i32 s0, s10, s6
	v_sub_f32_e32 v0, v0, v3
	v_add_f32_e32 v3, v2, v4
	v_sub_f32_e32 v2, v2, v4
	v_add_f32_e32 v4, v5, v6
	v_sub_f32_e32 v5, v5, v6
	v_add_f32_e32 v6, v7, v8
	s_lshl_b64 s[0:1], s[0:1], 2
	v_sub_f32_e32 v7, v7, v8
	s_add_u32 s0, s2, s0
	s_addc_u32 s1, s3, s1
	s_andn2_b32 vcc_lo, exec_lo, s8
	s_cbranch_vccz .LBB0_7
; %bb.5:
	s_andn2_b32 vcc_lo, exec_lo, s9
	s_cbranch_vccz .LBB0_8
.LBB0_6:
	s_endpgm
.LBB0_7:
	v_add_f32_e32 v8, v5, v7
	v_add_f32_e32 v9, v0, v2
	;; [unrolled: 1-line block ×4, first 2 shown]
	v_mul_f32_e32 v11, s4, v8
	v_mul_f32_e32 v10, s4, v9
	;; [unrolled: 1-line block ×4, first 2 shown]
	v_mov_b32_e32 v12, 0
	global_store_dwordx4 v12, v[8:11], s[0:1]
	s_andn2_b32 vcc_lo, exec_lo, s9
	s_cbranch_vccnz .LBB0_6
.LBB0_8:
	v_sub_f32_e32 v1, v1, v3
	v_sub_f32_e32 v3, v4, v6
	;; [unrolled: 1-line block ×4, first 2 shown]
	s_lshl_b32 s2, s7, 4
	v_mul_f32_e32 v0, s4, v1
	v_mul_f32_e32 v1, s4, v3
	;; [unrolled: 1-line block ×4, first 2 shown]
	v_mov_b32_e32 v4, s2
	global_store_dwordx4 v4, v[0:3], s[0:1]
	s_endpgm
	.section	.rodata,"a",@progbits
	.p2align	6, 0x0
	.amdhsa_kernel _Z30fast_hadamard_transform_kernelI37fast_hadamard_transform_kernel_traitsILi1ELi3EfEEv18HadamardParamsBase
		.amdhsa_group_segment_fixed_size 0
		.amdhsa_private_segment_fixed_size 0
		.amdhsa_kernarg_size 312
		.amdhsa_user_sgpr_count 6
		.amdhsa_user_sgpr_private_segment_buffer 1
		.amdhsa_user_sgpr_dispatch_ptr 0
		.amdhsa_user_sgpr_queue_ptr 0
		.amdhsa_user_sgpr_kernarg_segment_ptr 1
		.amdhsa_user_sgpr_dispatch_id 0
		.amdhsa_user_sgpr_flat_scratch_init 0
		.amdhsa_user_sgpr_private_segment_size 0
		.amdhsa_wavefront_size32 1
		.amdhsa_uses_dynamic_stack 0
		.amdhsa_system_sgpr_private_segment_wavefront_offset 0
		.amdhsa_system_sgpr_workgroup_id_x 1
		.amdhsa_system_sgpr_workgroup_id_y 0
		.amdhsa_system_sgpr_workgroup_id_z 0
		.amdhsa_system_sgpr_workgroup_info 0
		.amdhsa_system_vgpr_workitem_id 0
		.amdhsa_next_free_vgpr 14
		.amdhsa_next_free_sgpr 21
		.amdhsa_reserve_vcc 1
		.amdhsa_reserve_flat_scratch 0
		.amdhsa_float_round_mode_32 0
		.amdhsa_float_round_mode_16_64 0
		.amdhsa_float_denorm_mode_32 3
		.amdhsa_float_denorm_mode_16_64 3
		.amdhsa_dx10_clamp 1
		.amdhsa_ieee_mode 1
		.amdhsa_fp16_overflow 0
		.amdhsa_workgroup_processor_mode 1
		.amdhsa_memory_ordered 1
		.amdhsa_forward_progress 1
		.amdhsa_shared_vgpr_count 0
		.amdhsa_exception_fp_ieee_invalid_op 0
		.amdhsa_exception_fp_denorm_src 0
		.amdhsa_exception_fp_ieee_div_zero 0
		.amdhsa_exception_fp_ieee_overflow 0
		.amdhsa_exception_fp_ieee_underflow 0
		.amdhsa_exception_fp_ieee_inexact 0
		.amdhsa_exception_int_div_zero 0
	.end_amdhsa_kernel
	.section	.text._Z30fast_hadamard_transform_kernelI37fast_hadamard_transform_kernel_traitsILi1ELi3EfEEv18HadamardParamsBase,"axG",@progbits,_Z30fast_hadamard_transform_kernelI37fast_hadamard_transform_kernel_traitsILi1ELi3EfEEv18HadamardParamsBase,comdat
.Lfunc_end0:
	.size	_Z30fast_hadamard_transform_kernelI37fast_hadamard_transform_kernel_traitsILi1ELi3EfEEv18HadamardParamsBase, .Lfunc_end0-_Z30fast_hadamard_transform_kernelI37fast_hadamard_transform_kernel_traitsILi1ELi3EfEEv18HadamardParamsBase
                                        ; -- End function
	.set _Z30fast_hadamard_transform_kernelI37fast_hadamard_transform_kernel_traitsILi1ELi3EfEEv18HadamardParamsBase.num_vgpr, 14
	.set _Z30fast_hadamard_transform_kernelI37fast_hadamard_transform_kernel_traitsILi1ELi3EfEEv18HadamardParamsBase.num_agpr, 0
	.set _Z30fast_hadamard_transform_kernelI37fast_hadamard_transform_kernel_traitsILi1ELi3EfEEv18HadamardParamsBase.numbered_sgpr, 21
	.set _Z30fast_hadamard_transform_kernelI37fast_hadamard_transform_kernel_traitsILi1ELi3EfEEv18HadamardParamsBase.num_named_barrier, 0
	.set _Z30fast_hadamard_transform_kernelI37fast_hadamard_transform_kernel_traitsILi1ELi3EfEEv18HadamardParamsBase.private_seg_size, 0
	.set _Z30fast_hadamard_transform_kernelI37fast_hadamard_transform_kernel_traitsILi1ELi3EfEEv18HadamardParamsBase.uses_vcc, 1
	.set _Z30fast_hadamard_transform_kernelI37fast_hadamard_transform_kernel_traitsILi1ELi3EfEEv18HadamardParamsBase.uses_flat_scratch, 0
	.set _Z30fast_hadamard_transform_kernelI37fast_hadamard_transform_kernel_traitsILi1ELi3EfEEv18HadamardParamsBase.has_dyn_sized_stack, 0
	.set _Z30fast_hadamard_transform_kernelI37fast_hadamard_transform_kernel_traitsILi1ELi3EfEEv18HadamardParamsBase.has_recursion, 0
	.set _Z30fast_hadamard_transform_kernelI37fast_hadamard_transform_kernel_traitsILi1ELi3EfEEv18HadamardParamsBase.has_indirect_call, 0
	.section	.AMDGPU.csdata,"",@progbits
; Kernel info:
; codeLenInByte = 444
; TotalNumSgprs: 23
; NumVgprs: 14
; ScratchSize: 0
; MemoryBound: 0
; FloatMode: 240
; IeeeMode: 1
; LDSByteSize: 0 bytes/workgroup (compile time only)
; SGPRBlocks: 0
; VGPRBlocks: 1
; NumSGPRsForWavesPerEU: 23
; NumVGPRsForWavesPerEU: 14
; Occupancy: 16
; WaveLimiterHint : 0
; COMPUTE_PGM_RSRC2:SCRATCH_EN: 0
; COMPUTE_PGM_RSRC2:USER_SGPR: 6
; COMPUTE_PGM_RSRC2:TRAP_HANDLER: 0
; COMPUTE_PGM_RSRC2:TGID_X_EN: 1
; COMPUTE_PGM_RSRC2:TGID_Y_EN: 0
; COMPUTE_PGM_RSRC2:TGID_Z_EN: 0
; COMPUTE_PGM_RSRC2:TIDIG_COMP_CNT: 0
	.section	.text._Z30fast_hadamard_transform_kernelI37fast_hadamard_transform_kernel_traitsILi2ELi4EfEEv18HadamardParamsBase,"axG",@progbits,_Z30fast_hadamard_transform_kernelI37fast_hadamard_transform_kernel_traitsILi2ELi4EfEEv18HadamardParamsBase,comdat
	.protected	_Z30fast_hadamard_transform_kernelI37fast_hadamard_transform_kernel_traitsILi2ELi4EfEEv18HadamardParamsBase ; -- Begin function _Z30fast_hadamard_transform_kernelI37fast_hadamard_transform_kernel_traitsILi2ELi4EfEEv18HadamardParamsBase
	.globl	_Z30fast_hadamard_transform_kernelI37fast_hadamard_transform_kernel_traitsILi2ELi4EfEEv18HadamardParamsBase
	.p2align	8
	.type	_Z30fast_hadamard_transform_kernelI37fast_hadamard_transform_kernel_traitsILi2ELi4EfEEv18HadamardParamsBase,@function
_Z30fast_hadamard_transform_kernelI37fast_hadamard_transform_kernel_traitsILi2ELi4EfEEv18HadamardParamsBase: ; @_Z30fast_hadamard_transform_kernelI37fast_hadamard_transform_kernel_traitsILi2ELi4EfEEv18HadamardParamsBase
; %bb.0:
	s_clause 0x3
	s_load_dwordx4 s[8:11], s[4:5], 0x10
	s_load_dword s12, s[4:5], 0x4
	s_load_dwordx4 s[0:3], s[4:5], 0x28
	s_load_dword s13, s[4:5], 0x44
	s_ashr_i32 s7, s6, 31
	v_lshlrev_b32_e32 v2, 2, v0
	v_mov_b32_e32 v1, 0
	v_mov_b32_e32 v5, 0
	;; [unrolled: 1-line block ×4, first 2 shown]
	v_lshlrev_b32_e32 v9, 4, v0
	v_mov_b32_e32 v8, 0
	s_waitcnt lgkmcnt(0)
	s_mul_hi_u32 s14, s8, s6
	s_mul_i32 s15, s8, s7
	s_mul_i32 s9, s9, s6
	s_add_i32 s14, s14, s15
	s_mul_i32 s8, s8, s6
	s_add_i32 s9, s14, s9
	v_cmp_gt_u32_e32 vcc_lo, s12, v2
	s_lshl_b64 s[8:9], s[8:9], 2
	s_add_u32 s8, s0, s8
	s_addc_u32 s9, s1, s9
	s_and_saveexec_b32 s0, vcc_lo
	s_cbranch_execz .LBB1_2
; %bb.1:
	global_load_dwordx4 v[5:8], v9, s[8:9]
.LBB1_2:
	s_or_b32 exec_lo, exec_lo, s0
	s_and_b32 s0, 0xffff, s13
	v_mov_b32_e32 v2, 0
	v_add_nc_u32_e32 v4, s0, v0
	v_mov_b32_e32 v3, 0
	v_lshlrev_b32_e32 v11, 2, v4
	v_lshlrev_b32_e32 v10, 4, v4
	v_mov_b32_e32 v4, 0
	v_cmp_gt_u32_e64 s0, s12, v11
	s_and_saveexec_b32 s1, s0
	s_cbranch_execz .LBB1_4
; %bb.3:
	global_load_dwordx4 v[1:4], v10, s[8:9]
.LBB1_4:
	s_or_b32 exec_lo, exec_lo, s1
	v_mbcnt_lo_u32_b32 v11, -1, 0
	s_waitcnt vmcnt(0)
	v_add_f32_e32 v12, v5, v6
	v_sub_f32_e32 v5, v5, v6
	v_add_f32_e32 v13, v1, v2
	v_sub_f32_e32 v1, v1, v2
	v_xor_b32_e32 v6, 1, v11
	v_add_f32_e32 v2, v7, v8
	v_sub_f32_e32 v7, v7, v8
	v_add_f32_e32 v8, v3, v4
	v_sub_f32_e32 v3, v3, v4
	v_cmp_gt_i32_e64 s1, 32, v6
	v_add_f32_e32 v4, v12, v2
	v_sub_f32_e32 v2, v12, v2
	v_add_f32_e32 v12, v13, v8
	v_sub_f32_e32 v8, v13, v8
	v_cndmask_b32_e64 v6, v11, v6, s1
	v_add_f32_e32 v11, v5, v7
	v_sub_f32_e32 v5, v5, v7
	v_add_f32_e32 v7, v1, v3
	v_cmp_eq_u32_e64 s1, 0, v0
	v_lshlrev_b32_e32 v6, 2, v6
	v_sub_f32_e32 v13, v1, v3
	s_load_dword s4, s[4:5], 0x20
	s_mul_i32 s5, s10, s7
	v_cndmask_b32_e64 v1, -v11, v11, s1
	ds_bpermute_b32 v14, v6, v4
	ds_bpermute_b32 v15, v6, v11
	;; [unrolled: 1-line block ×8, first 2 shown]
	s_mul_hi_u32 s7, s10, s6
	v_cndmask_b32_e64 v0, -v4, v4, s1
	v_cndmask_b32_e64 v2, -v2, v2, s1
	;; [unrolled: 1-line block ×7, first 2 shown]
	s_add_i32 s1, s7, s5
	s_mul_i32 s5, s11, s6
	s_mul_i32 s6, s10, s6
	s_add_i32 s7, s1, s5
	s_waitcnt lgkmcnt(0)
	v_add_f32_e32 v0, v0, v14
	v_add_f32_e32 v1, v1, v15
	;; [unrolled: 1-line block ×8, first 2 shown]
	s_lshl_b64 s[6:7], s[6:7], 2
	s_add_u32 s2, s2, s6
	s_addc_u32 s3, s3, s7
	s_and_saveexec_b32 s1, vcc_lo
	s_cbranch_execnz .LBB1_7
; %bb.5:
	s_or_b32 exec_lo, exec_lo, s1
	s_and_saveexec_b32 s1, s0
	s_cbranch_execnz .LBB1_8
.LBB1_6:
	s_endpgm
.LBB1_7:
	v_add_f32_e32 v8, v3, v7
	v_add_f32_e32 v11, v2, v6
	;; [unrolled: 1-line block ×4, first 2 shown]
	v_mul_f32_e32 v14, s4, v8
	v_mul_f32_e32 v13, s4, v11
	;; [unrolled: 1-line block ×4, first 2 shown]
	global_store_dwordx4 v9, v[11:14], s[2:3]
	s_or_b32 exec_lo, exec_lo, s1
	s_and_saveexec_b32 s1, s0
	s_cbranch_execz .LBB1_6
.LBB1_8:
	v_sub_f32_e32 v0, v0, v4
	v_sub_f32_e32 v1, v1, v5
	;; [unrolled: 1-line block ×4, first 2 shown]
	v_mul_f32_e32 v0, s4, v0
	v_mul_f32_e32 v1, s4, v1
	;; [unrolled: 1-line block ×4, first 2 shown]
	global_store_dwordx4 v10, v[0:3], s[2:3]
	s_endpgm
	.section	.rodata,"a",@progbits
	.p2align	6, 0x0
	.amdhsa_kernel _Z30fast_hadamard_transform_kernelI37fast_hadamard_transform_kernel_traitsILi2ELi4EfEEv18HadamardParamsBase
		.amdhsa_group_segment_fixed_size 0
		.amdhsa_private_segment_fixed_size 0
		.amdhsa_kernarg_size 312
		.amdhsa_user_sgpr_count 6
		.amdhsa_user_sgpr_private_segment_buffer 1
		.amdhsa_user_sgpr_dispatch_ptr 0
		.amdhsa_user_sgpr_queue_ptr 0
		.amdhsa_user_sgpr_kernarg_segment_ptr 1
		.amdhsa_user_sgpr_dispatch_id 0
		.amdhsa_user_sgpr_flat_scratch_init 0
		.amdhsa_user_sgpr_private_segment_size 0
		.amdhsa_wavefront_size32 1
		.amdhsa_uses_dynamic_stack 0
		.amdhsa_system_sgpr_private_segment_wavefront_offset 0
		.amdhsa_system_sgpr_workgroup_id_x 1
		.amdhsa_system_sgpr_workgroup_id_y 0
		.amdhsa_system_sgpr_workgroup_id_z 0
		.amdhsa_system_sgpr_workgroup_info 0
		.amdhsa_system_vgpr_workitem_id 0
		.amdhsa_next_free_vgpr 21
		.amdhsa_next_free_sgpr 16
		.amdhsa_reserve_vcc 1
		.amdhsa_reserve_flat_scratch 0
		.amdhsa_float_round_mode_32 0
		.amdhsa_float_round_mode_16_64 0
		.amdhsa_float_denorm_mode_32 3
		.amdhsa_float_denorm_mode_16_64 3
		.amdhsa_dx10_clamp 1
		.amdhsa_ieee_mode 1
		.amdhsa_fp16_overflow 0
		.amdhsa_workgroup_processor_mode 1
		.amdhsa_memory_ordered 1
		.amdhsa_forward_progress 1
		.amdhsa_shared_vgpr_count 0
		.amdhsa_exception_fp_ieee_invalid_op 0
		.amdhsa_exception_fp_denorm_src 0
		.amdhsa_exception_fp_ieee_div_zero 0
		.amdhsa_exception_fp_ieee_overflow 0
		.amdhsa_exception_fp_ieee_underflow 0
		.amdhsa_exception_fp_ieee_inexact 0
		.amdhsa_exception_int_div_zero 0
	.end_amdhsa_kernel
	.section	.text._Z30fast_hadamard_transform_kernelI37fast_hadamard_transform_kernel_traitsILi2ELi4EfEEv18HadamardParamsBase,"axG",@progbits,_Z30fast_hadamard_transform_kernelI37fast_hadamard_transform_kernel_traitsILi2ELi4EfEEv18HadamardParamsBase,comdat
.Lfunc_end1:
	.size	_Z30fast_hadamard_transform_kernelI37fast_hadamard_transform_kernel_traitsILi2ELi4EfEEv18HadamardParamsBase, .Lfunc_end1-_Z30fast_hadamard_transform_kernelI37fast_hadamard_transform_kernel_traitsILi2ELi4EfEEv18HadamardParamsBase
                                        ; -- End function
	.set _Z30fast_hadamard_transform_kernelI37fast_hadamard_transform_kernel_traitsILi2ELi4EfEEv18HadamardParamsBase.num_vgpr, 21
	.set _Z30fast_hadamard_transform_kernelI37fast_hadamard_transform_kernel_traitsILi2ELi4EfEEv18HadamardParamsBase.num_agpr, 0
	.set _Z30fast_hadamard_transform_kernelI37fast_hadamard_transform_kernel_traitsILi2ELi4EfEEv18HadamardParamsBase.numbered_sgpr, 16
	.set _Z30fast_hadamard_transform_kernelI37fast_hadamard_transform_kernel_traitsILi2ELi4EfEEv18HadamardParamsBase.num_named_barrier, 0
	.set _Z30fast_hadamard_transform_kernelI37fast_hadamard_transform_kernel_traitsILi2ELi4EfEEv18HadamardParamsBase.private_seg_size, 0
	.set _Z30fast_hadamard_transform_kernelI37fast_hadamard_transform_kernel_traitsILi2ELi4EfEEv18HadamardParamsBase.uses_vcc, 1
	.set _Z30fast_hadamard_transform_kernelI37fast_hadamard_transform_kernel_traitsILi2ELi4EfEEv18HadamardParamsBase.uses_flat_scratch, 0
	.set _Z30fast_hadamard_transform_kernelI37fast_hadamard_transform_kernel_traitsILi2ELi4EfEEv18HadamardParamsBase.has_dyn_sized_stack, 0
	.set _Z30fast_hadamard_transform_kernelI37fast_hadamard_transform_kernel_traitsILi2ELi4EfEEv18HadamardParamsBase.has_recursion, 0
	.set _Z30fast_hadamard_transform_kernelI37fast_hadamard_transform_kernel_traitsILi2ELi4EfEEv18HadamardParamsBase.has_indirect_call, 0
	.section	.AMDGPU.csdata,"",@progbits
; Kernel info:
; codeLenInByte = 628
; TotalNumSgprs: 18
; NumVgprs: 21
; ScratchSize: 0
; MemoryBound: 0
; FloatMode: 240
; IeeeMode: 1
; LDSByteSize: 0 bytes/workgroup (compile time only)
; SGPRBlocks: 0
; VGPRBlocks: 2
; NumSGPRsForWavesPerEU: 18
; NumVGPRsForWavesPerEU: 21
; Occupancy: 16
; WaveLimiterHint : 0
; COMPUTE_PGM_RSRC2:SCRATCH_EN: 0
; COMPUTE_PGM_RSRC2:USER_SGPR: 6
; COMPUTE_PGM_RSRC2:TRAP_HANDLER: 0
; COMPUTE_PGM_RSRC2:TGID_X_EN: 1
; COMPUTE_PGM_RSRC2:TGID_Y_EN: 0
; COMPUTE_PGM_RSRC2:TGID_Z_EN: 0
; COMPUTE_PGM_RSRC2:TIDIG_COMP_CNT: 0
	.section	.text._Z30fast_hadamard_transform_kernelI37fast_hadamard_transform_kernel_traitsILi4ELi5EfEEv18HadamardParamsBase,"axG",@progbits,_Z30fast_hadamard_transform_kernelI37fast_hadamard_transform_kernel_traitsILi4ELi5EfEEv18HadamardParamsBase,comdat
	.protected	_Z30fast_hadamard_transform_kernelI37fast_hadamard_transform_kernel_traitsILi4ELi5EfEEv18HadamardParamsBase ; -- Begin function _Z30fast_hadamard_transform_kernelI37fast_hadamard_transform_kernel_traitsILi4ELi5EfEEv18HadamardParamsBase
	.globl	_Z30fast_hadamard_transform_kernelI37fast_hadamard_transform_kernel_traitsILi4ELi5EfEEv18HadamardParamsBase
	.p2align	8
	.type	_Z30fast_hadamard_transform_kernelI37fast_hadamard_transform_kernel_traitsILi4ELi5EfEEv18HadamardParamsBase,@function
_Z30fast_hadamard_transform_kernelI37fast_hadamard_transform_kernel_traitsILi4ELi5EfEEv18HadamardParamsBase: ; @_Z30fast_hadamard_transform_kernelI37fast_hadamard_transform_kernel_traitsILi4ELi5EfEEv18HadamardParamsBase
; %bb.0:
	s_clause 0x3
	s_load_dwordx4 s[12:15], s[4:5], 0x10
	s_load_dword s0, s[4:5], 0x4
	s_load_dwordx4 s[8:11], s[4:5], 0x28
	s_load_dword s1, s[4:5], 0x44
	s_ashr_i32 s7, s6, 31
	v_lshlrev_b32_e32 v2, 2, v0
	v_mov_b32_e32 v1, 0
	v_mov_b32_e32 v5, 0
	;; [unrolled: 1-line block ×4, first 2 shown]
	v_lshlrev_b32_e32 v9, 4, v0
	v_mov_b32_e32 v8, 0
	s_waitcnt lgkmcnt(0)
	s_mul_hi_u32 s2, s12, s6
	s_mul_i32 s3, s12, s7
	s_mul_i32 s13, s13, s6
	s_add_i32 s3, s2, s3
	s_mul_i32 s2, s12, s6
	s_add_i32 s3, s3, s13
	v_cmp_gt_u32_e32 vcc_lo, s0, v2
	s_lshl_b64 s[2:3], s[2:3], 2
	s_add_u32 s2, s8, s2
	s_addc_u32 s3, s9, s3
	s_and_saveexec_b32 s8, vcc_lo
	s_cbranch_execz .LBB2_2
; %bb.1:
	global_load_dwordx4 v[5:8], v9, s[2:3]
.LBB2_2:
	s_or_b32 exec_lo, exec_lo, s8
	s_and_b32 s1, 0xffff, s1
	v_mov_b32_e32 v2, 0
	v_add_nc_u32_e32 v4, s1, v0
	v_mov_b32_e32 v3, 0
	v_lshlrev_b32_e32 v11, 2, v4
	v_lshlrev_b32_e32 v10, 4, v4
	v_mov_b32_e32 v4, 0
	v_cmp_gt_u32_e64 s0, s0, v11
	s_and_saveexec_b32 s1, s0
	s_cbranch_execz .LBB2_4
; %bb.3:
	global_load_dwordx4 v[1:4], v10, s[2:3]
.LBB2_4:
	s_or_b32 exec_lo, exec_lo, s1
	v_mbcnt_lo_u32_b32 v11, -1, 0
	s_waitcnt vmcnt(0)
	v_add_f32_e32 v12, v5, v6
	v_sub_f32_e32 v5, v5, v6
	v_add_f32_e32 v13, v1, v2
	v_sub_f32_e32 v1, v1, v2
	v_xor_b32_e32 v6, 1, v11
	v_add_f32_e32 v2, v7, v8
	v_sub_f32_e32 v7, v7, v8
	v_add_f32_e32 v8, v3, v4
	v_sub_f32_e32 v3, v3, v4
	v_cmp_gt_i32_e64 s1, 32, v6
	v_add_f32_e32 v14, v12, v2
	v_add_f32_e32 v15, v5, v7
	v_and_b32_e32 v4, 1, v0
	v_add_f32_e32 v17, v1, v3
	v_cndmask_b32_e64 v6, v11, v6, s1
	v_sub_f32_e32 v1, v1, v3
	v_xor_b32_e32 v3, 2, v11
	v_sub_f32_e32 v2, v12, v2
	v_add_f32_e32 v12, v13, v8
	v_lshlrev_b32_e32 v6, 2, v6
	v_sub_f32_e32 v5, v5, v7
	v_sub_f32_e32 v8, v13, v8
	v_cmp_gt_i32_e64 s2, 32, v3
	v_cmp_eq_u32_e64 s1, 0, v4
	ds_bpermute_b32 v7, v6, v14
	ds_bpermute_b32 v16, v6, v15
	;; [unrolled: 1-line block ×6, first 2 shown]
	v_cndmask_b32_e64 v3, v11, v3, s2
	ds_bpermute_b32 v11, v6, v8
	ds_bpermute_b32 v6, v6, v1
	v_cndmask_b32_e64 v13, -v14, v14, s1
	v_cndmask_b32_e64 v14, -v15, v15, s1
	;; [unrolled: 1-line block ×7, first 2 shown]
	v_and_b32_e32 v0, 2, v0
	v_lshlrev_b32_e32 v3, 2, v3
	s_load_dword s4, s[4:5], 0x20
	s_mul_i32 s2, s14, s7
	s_waitcnt lgkmcnt(0)
	v_add_f32_e32 v7, v13, v7
	v_add_f32_e32 v13, v14, v16
	v_cndmask_b32_e64 v14, -v17, v17, s1
	v_add_f32_e32 v2, v2, v4
	v_add_f32_e32 v4, v5, v18
	;; [unrolled: 1-line block ×3, first 2 shown]
	v_cmp_eq_u32_e64 s1, 0, v0
	v_add_f32_e32 v12, v14, v20
	v_add_f32_e32 v8, v8, v11
	;; [unrolled: 1-line block ×3, first 2 shown]
	ds_bpermute_b32 v14, v3, v7
	ds_bpermute_b32 v15, v3, v13
	;; [unrolled: 1-line block ×6, first 2 shown]
	v_cndmask_b32_e64 v0, -v7, v7, s1
	ds_bpermute_b32 v7, v3, v8
	ds_bpermute_b32 v11, v3, v6
	s_mul_hi_u32 s3, s14, s6
	v_cndmask_b32_e64 v1, -v13, v13, s1
	v_cndmask_b32_e64 v2, -v2, v2, s1
	;; [unrolled: 1-line block ×7, first 2 shown]
	s_add_i32 s1, s3, s2
	s_mul_i32 s2, s15, s6
	s_add_i32 s3, s1, s2
	s_mul_i32 s2, s14, s6
	s_waitcnt lgkmcnt(7)
	v_add_f32_e32 v0, v0, v14
	s_waitcnt lgkmcnt(6)
	v_add_f32_e32 v1, v1, v15
	;; [unrolled: 2-line block ×8, first 2 shown]
	s_lshl_b64 s[2:3], s[2:3], 2
	s_add_u32 s2, s10, s2
	s_addc_u32 s3, s11, s3
	s_and_saveexec_b32 s1, vcc_lo
	s_cbranch_execnz .LBB2_7
; %bb.5:
	s_or_b32 exec_lo, exec_lo, s1
	s_and_saveexec_b32 s1, s0
	s_cbranch_execnz .LBB2_8
.LBB2_6:
	s_endpgm
.LBB2_7:
	v_add_f32_e32 v8, v3, v7
	v_add_f32_e32 v11, v2, v6
	;; [unrolled: 1-line block ×4, first 2 shown]
	v_mul_f32_e32 v14, s4, v8
	v_mul_f32_e32 v13, s4, v11
	;; [unrolled: 1-line block ×4, first 2 shown]
	global_store_dwordx4 v9, v[11:14], s[2:3]
	s_or_b32 exec_lo, exec_lo, s1
	s_and_saveexec_b32 s1, s0
	s_cbranch_execz .LBB2_6
.LBB2_8:
	v_sub_f32_e32 v0, v0, v4
	v_sub_f32_e32 v1, v1, v5
	;; [unrolled: 1-line block ×4, first 2 shown]
	v_mul_f32_e32 v0, s4, v0
	v_mul_f32_e32 v1, s4, v1
	;; [unrolled: 1-line block ×4, first 2 shown]
	global_store_dwordx4 v10, v[0:3], s[2:3]
	s_endpgm
	.section	.rodata,"a",@progbits
	.p2align	6, 0x0
	.amdhsa_kernel _Z30fast_hadamard_transform_kernelI37fast_hadamard_transform_kernel_traitsILi4ELi5EfEEv18HadamardParamsBase
		.amdhsa_group_segment_fixed_size 0
		.amdhsa_private_segment_fixed_size 0
		.amdhsa_kernarg_size 312
		.amdhsa_user_sgpr_count 6
		.amdhsa_user_sgpr_private_segment_buffer 1
		.amdhsa_user_sgpr_dispatch_ptr 0
		.amdhsa_user_sgpr_queue_ptr 0
		.amdhsa_user_sgpr_kernarg_segment_ptr 1
		.amdhsa_user_sgpr_dispatch_id 0
		.amdhsa_user_sgpr_flat_scratch_init 0
		.amdhsa_user_sgpr_private_segment_size 0
		.amdhsa_wavefront_size32 1
		.amdhsa_uses_dynamic_stack 0
		.amdhsa_system_sgpr_private_segment_wavefront_offset 0
		.amdhsa_system_sgpr_workgroup_id_x 1
		.amdhsa_system_sgpr_workgroup_id_y 0
		.amdhsa_system_sgpr_workgroup_id_z 0
		.amdhsa_system_sgpr_workgroup_info 0
		.amdhsa_system_vgpr_workitem_id 0
		.amdhsa_next_free_vgpr 21
		.amdhsa_next_free_sgpr 16
		.amdhsa_reserve_vcc 1
		.amdhsa_reserve_flat_scratch 0
		.amdhsa_float_round_mode_32 0
		.amdhsa_float_round_mode_16_64 0
		.amdhsa_float_denorm_mode_32 3
		.amdhsa_float_denorm_mode_16_64 3
		.amdhsa_dx10_clamp 1
		.amdhsa_ieee_mode 1
		.amdhsa_fp16_overflow 0
		.amdhsa_workgroup_processor_mode 1
		.amdhsa_memory_ordered 1
		.amdhsa_forward_progress 1
		.amdhsa_shared_vgpr_count 0
		.amdhsa_exception_fp_ieee_invalid_op 0
		.amdhsa_exception_fp_denorm_src 0
		.amdhsa_exception_fp_ieee_div_zero 0
		.amdhsa_exception_fp_ieee_overflow 0
		.amdhsa_exception_fp_ieee_underflow 0
		.amdhsa_exception_fp_ieee_inexact 0
		.amdhsa_exception_int_div_zero 0
	.end_amdhsa_kernel
	.section	.text._Z30fast_hadamard_transform_kernelI37fast_hadamard_transform_kernel_traitsILi4ELi5EfEEv18HadamardParamsBase,"axG",@progbits,_Z30fast_hadamard_transform_kernelI37fast_hadamard_transform_kernel_traitsILi4ELi5EfEEv18HadamardParamsBase,comdat
.Lfunc_end2:
	.size	_Z30fast_hadamard_transform_kernelI37fast_hadamard_transform_kernel_traitsILi4ELi5EfEEv18HadamardParamsBase, .Lfunc_end2-_Z30fast_hadamard_transform_kernelI37fast_hadamard_transform_kernel_traitsILi4ELi5EfEEv18HadamardParamsBase
                                        ; -- End function
	.set _Z30fast_hadamard_transform_kernelI37fast_hadamard_transform_kernel_traitsILi4ELi5EfEEv18HadamardParamsBase.num_vgpr, 21
	.set _Z30fast_hadamard_transform_kernelI37fast_hadamard_transform_kernel_traitsILi4ELi5EfEEv18HadamardParamsBase.num_agpr, 0
	.set _Z30fast_hadamard_transform_kernelI37fast_hadamard_transform_kernel_traitsILi4ELi5EfEEv18HadamardParamsBase.numbered_sgpr, 16
	.set _Z30fast_hadamard_transform_kernelI37fast_hadamard_transform_kernel_traitsILi4ELi5EfEEv18HadamardParamsBase.num_named_barrier, 0
	.set _Z30fast_hadamard_transform_kernelI37fast_hadamard_transform_kernel_traitsILi4ELi5EfEEv18HadamardParamsBase.private_seg_size, 0
	.set _Z30fast_hadamard_transform_kernelI37fast_hadamard_transform_kernel_traitsILi4ELi5EfEEv18HadamardParamsBase.uses_vcc, 1
	.set _Z30fast_hadamard_transform_kernelI37fast_hadamard_transform_kernel_traitsILi4ELi5EfEEv18HadamardParamsBase.uses_flat_scratch, 0
	.set _Z30fast_hadamard_transform_kernelI37fast_hadamard_transform_kernel_traitsILi4ELi5EfEEv18HadamardParamsBase.has_dyn_sized_stack, 0
	.set _Z30fast_hadamard_transform_kernelI37fast_hadamard_transform_kernel_traitsILi4ELi5EfEEv18HadamardParamsBase.has_recursion, 0
	.set _Z30fast_hadamard_transform_kernelI37fast_hadamard_transform_kernel_traitsILi4ELi5EfEEv18HadamardParamsBase.has_indirect_call, 0
	.section	.AMDGPU.csdata,"",@progbits
; Kernel info:
; codeLenInByte = 860
; TotalNumSgprs: 18
; NumVgprs: 21
; ScratchSize: 0
; MemoryBound: 0
; FloatMode: 240
; IeeeMode: 1
; LDSByteSize: 0 bytes/workgroup (compile time only)
; SGPRBlocks: 0
; VGPRBlocks: 2
; NumSGPRsForWavesPerEU: 18
; NumVGPRsForWavesPerEU: 21
; Occupancy: 16
; WaveLimiterHint : 0
; COMPUTE_PGM_RSRC2:SCRATCH_EN: 0
; COMPUTE_PGM_RSRC2:USER_SGPR: 6
; COMPUTE_PGM_RSRC2:TRAP_HANDLER: 0
; COMPUTE_PGM_RSRC2:TGID_X_EN: 1
; COMPUTE_PGM_RSRC2:TGID_Y_EN: 0
; COMPUTE_PGM_RSRC2:TGID_Z_EN: 0
; COMPUTE_PGM_RSRC2:TIDIG_COMP_CNT: 0
	.section	.text._Z30fast_hadamard_transform_kernelI37fast_hadamard_transform_kernel_traitsILi8ELi6EfEEv18HadamardParamsBase,"axG",@progbits,_Z30fast_hadamard_transform_kernelI37fast_hadamard_transform_kernel_traitsILi8ELi6EfEEv18HadamardParamsBase,comdat
	.protected	_Z30fast_hadamard_transform_kernelI37fast_hadamard_transform_kernel_traitsILi8ELi6EfEEv18HadamardParamsBase ; -- Begin function _Z30fast_hadamard_transform_kernelI37fast_hadamard_transform_kernel_traitsILi8ELi6EfEEv18HadamardParamsBase
	.globl	_Z30fast_hadamard_transform_kernelI37fast_hadamard_transform_kernel_traitsILi8ELi6EfEEv18HadamardParamsBase
	.p2align	8
	.type	_Z30fast_hadamard_transform_kernelI37fast_hadamard_transform_kernel_traitsILi8ELi6EfEEv18HadamardParamsBase,@function
_Z30fast_hadamard_transform_kernelI37fast_hadamard_transform_kernel_traitsILi8ELi6EfEEv18HadamardParamsBase: ; @_Z30fast_hadamard_transform_kernelI37fast_hadamard_transform_kernel_traitsILi8ELi6EfEEv18HadamardParamsBase
; %bb.0:
	s_clause 0x3
	s_load_dwordx4 s[12:15], s[4:5], 0x10
	s_load_dword s0, s[4:5], 0x4
	s_load_dwordx4 s[8:11], s[4:5], 0x28
	s_load_dword s1, s[4:5], 0x44
	s_ashr_i32 s7, s6, 31
	v_lshlrev_b32_e32 v2, 2, v0
	v_mov_b32_e32 v1, 0
	v_mov_b32_e32 v5, 0
	;; [unrolled: 1-line block ×4, first 2 shown]
	v_lshlrev_b32_e32 v9, 4, v0
	v_mov_b32_e32 v8, 0
	s_waitcnt lgkmcnt(0)
	s_mul_hi_u32 s2, s12, s6
	s_mul_i32 s3, s12, s7
	s_mul_i32 s13, s13, s6
	s_add_i32 s3, s2, s3
	s_mul_i32 s2, s12, s6
	s_add_i32 s3, s3, s13
	v_cmp_gt_u32_e32 vcc_lo, s0, v2
	s_lshl_b64 s[2:3], s[2:3], 2
	s_add_u32 s2, s8, s2
	s_addc_u32 s3, s9, s3
	s_and_saveexec_b32 s8, vcc_lo
	s_cbranch_execz .LBB3_2
; %bb.1:
	global_load_dwordx4 v[5:8], v9, s[2:3]
.LBB3_2:
	s_or_b32 exec_lo, exec_lo, s8
	s_and_b32 s1, 0xffff, s1
	v_mov_b32_e32 v2, 0
	v_add_nc_u32_e32 v4, s1, v0
	v_mov_b32_e32 v3, 0
	v_lshlrev_b32_e32 v11, 2, v4
	v_lshlrev_b32_e32 v10, 4, v4
	v_mov_b32_e32 v4, 0
	v_cmp_gt_u32_e64 s0, s0, v11
	s_and_saveexec_b32 s1, s0
	s_cbranch_execz .LBB3_4
; %bb.3:
	global_load_dwordx4 v[1:4], v10, s[2:3]
.LBB3_4:
	s_or_b32 exec_lo, exec_lo, s1
	v_mbcnt_lo_u32_b32 v11, -1, 0
	s_waitcnt vmcnt(0)
	v_add_f32_e32 v12, v5, v6
	v_sub_f32_e32 v5, v5, v6
	v_add_f32_e32 v13, v1, v2
	v_sub_f32_e32 v1, v1, v2
	v_xor_b32_e32 v6, 1, v11
	v_add_f32_e32 v2, v7, v8
	v_sub_f32_e32 v7, v7, v8
	v_add_f32_e32 v8, v3, v4
	v_sub_f32_e32 v3, v3, v4
	v_cmp_gt_i32_e64 s1, 32, v6
	v_add_f32_e32 v14, v12, v2
	v_add_f32_e32 v15, v5, v7
	v_sub_f32_e32 v2, v12, v2
	v_and_b32_e32 v4, 1, v0
	v_cndmask_b32_e64 v6, v11, v6, s1
	v_add_f32_e32 v12, v13, v8
	v_sub_f32_e32 v8, v13, v8
	v_sub_f32_e32 v5, v5, v7
	v_add_f32_e32 v7, v1, v3
	v_lshlrev_b32_e32 v6, 2, v6
	v_sub_f32_e32 v1, v1, v3
	v_xor_b32_e32 v3, 2, v11
	v_cmp_eq_u32_e64 s1, 0, v4
	v_and_b32_e32 v16, 2, v0
	ds_bpermute_b32 v17, v6, v14
	ds_bpermute_b32 v18, v6, v15
	;; [unrolled: 1-line block ×3, first 2 shown]
	v_cmp_gt_i32_e64 s2, 32, v3
	v_cndmask_b32_e64 v14, -v14, v14, s1
	ds_bpermute_b32 v19, v6, v5
	ds_bpermute_b32 v20, v6, v12
	;; [unrolled: 1-line block ×3, first 2 shown]
	v_cndmask_b32_e64 v3, v11, v3, s2
	v_cndmask_b32_e64 v15, -v15, v15, s1
	v_cndmask_b32_e64 v2, -v2, v2, s1
	v_xor_b32_e32 v4, 4, v11
	v_cndmask_b32_e64 v5, -v5, v5, s1
	v_lshlrev_b32_e32 v3, 2, v3
	v_cndmask_b32_e64 v12, -v12, v12, s1
	v_cndmask_b32_e64 v7, -v7, v7, s1
	v_cmp_gt_i32_e64 s2, 32, v4
	v_and_b32_e32 v0, 4, v0
	s_load_dword s4, s[4:5], 0x20
	s_mul_hi_u32 s3, s14, s6
	s_waitcnt lgkmcnt(0)
	v_add_f32_e32 v14, v14, v17
	ds_bpermute_b32 v17, v6, v8
	ds_bpermute_b32 v6, v6, v1
	v_add_f32_e32 v15, v15, v18
	v_add_f32_e32 v2, v2, v13
	ds_bpermute_b32 v18, v3, v14
	v_cndmask_b32_e64 v8, -v8, v8, s1
	v_cndmask_b32_e64 v1, -v1, v1, s1
	v_cmp_eq_u32_e64 s1, 0, v16
	ds_bpermute_b32 v13, v3, v2
	v_add_f32_e32 v5, v5, v19
	v_add_f32_e32 v12, v12, v20
	;; [unrolled: 1-line block ×3, first 2 shown]
	v_cndmask_b32_e64 v14, -v14, v14, s1
	v_cndmask_b32_e64 v4, v11, v4, s2
	ds_bpermute_b32 v22, v3, v15
	ds_bpermute_b32 v16, v3, v5
	;; [unrolled: 1-line block ×4, first 2 shown]
	v_cndmask_b32_e64 v2, -v2, v2, s1
	v_lshlrev_b32_e32 v4, 2, v4
	s_waitcnt lgkmcnt(7)
	v_add_f32_e32 v8, v8, v17
	s_waitcnt lgkmcnt(6)
	v_add_f32_e32 v1, v1, v6
	v_cndmask_b32_e64 v15, -v15, v15, s1
	v_cndmask_b32_e64 v5, -v5, v5, s1
	s_waitcnt lgkmcnt(5)
	v_add_f32_e32 v6, v14, v18
	ds_bpermute_b32 v14, v3, v8
	ds_bpermute_b32 v3, v3, v1
	v_cndmask_b32_e64 v12, -v12, v12, s1
	s_waitcnt lgkmcnt(6)
	v_add_f32_e32 v2, v2, v13
	ds_bpermute_b32 v13, v4, v6
	v_cndmask_b32_e64 v7, -v7, v7, s1
	v_cndmask_b32_e64 v8, -v8, v8, s1
	;; [unrolled: 1-line block ×3, first 2 shown]
	v_cmp_eq_u32_e64 s1, 0, v0
	s_waitcnt lgkmcnt(6)
	v_add_f32_e32 v11, v15, v22
	s_waitcnt lgkmcnt(5)
	v_add_f32_e32 v5, v5, v16
	;; [unrolled: 2-line block ×4, first 2 shown]
	v_cndmask_b32_e64 v0, -v6, v6, s1
	ds_bpermute_b32 v15, v4, v11
	ds_bpermute_b32 v16, v4, v2
	;; [unrolled: 1-line block ×5, first 2 shown]
	s_mul_i32 s2, s14, s7
	s_waitcnt lgkmcnt(7)
	v_add_f32_e32 v8, v8, v14
	s_waitcnt lgkmcnt(6)
	v_add_f32_e32 v6, v1, v3
	v_cndmask_b32_e64 v1, -v11, v11, s1
	v_cndmask_b32_e64 v2, -v2, v2, s1
	s_waitcnt lgkmcnt(5)
	v_add_f32_e32 v0, v0, v13
	ds_bpermute_b32 v14, v4, v8
	ds_bpermute_b32 v13, v4, v6
	v_cndmask_b32_e64 v3, -v5, v5, s1
	v_cndmask_b32_e64 v4, -v12, v12, s1
	;; [unrolled: 1-line block ×5, first 2 shown]
	s_add_i32 s1, s3, s2
	s_mul_i32 s2, s15, s6
	s_waitcnt lgkmcnt(6)
	v_add_f32_e32 v1, v1, v15
	s_add_i32 s3, s1, s2
	s_mul_i32 s2, s14, s6
	s_waitcnt lgkmcnt(5)
	v_add_f32_e32 v2, v2, v16
	s_waitcnt lgkmcnt(4)
	v_add_f32_e32 v3, v3, v17
	;; [unrolled: 2-line block ×4, first 2 shown]
	s_lshl_b64 s[2:3], s[2:3], 2
	s_add_u32 s2, s10, s2
	s_addc_u32 s3, s11, s3
	s_waitcnt lgkmcnt(1)
	v_add_f32_e32 v6, v7, v14
	s_waitcnt lgkmcnt(0)
	v_add_f32_e32 v7, v8, v13
	s_and_saveexec_b32 s1, vcc_lo
	s_cbranch_execnz .LBB3_7
; %bb.5:
	s_or_b32 exec_lo, exec_lo, s1
	s_and_saveexec_b32 s1, s0
	s_cbranch_execnz .LBB3_8
.LBB3_6:
	s_endpgm
.LBB3_7:
	v_add_f32_e32 v8, v3, v7
	v_add_f32_e32 v11, v2, v6
	;; [unrolled: 1-line block ×4, first 2 shown]
	v_mul_f32_e32 v14, s4, v8
	v_mul_f32_e32 v13, s4, v11
	;; [unrolled: 1-line block ×4, first 2 shown]
	global_store_dwordx4 v9, v[11:14], s[2:3]
	s_or_b32 exec_lo, exec_lo, s1
	s_and_saveexec_b32 s1, s0
	s_cbranch_execz .LBB3_6
.LBB3_8:
	v_sub_f32_e32 v0, v0, v4
	v_sub_f32_e32 v1, v1, v5
	;; [unrolled: 1-line block ×4, first 2 shown]
	v_mul_f32_e32 v0, s4, v0
	v_mul_f32_e32 v1, s4, v1
	;; [unrolled: 1-line block ×4, first 2 shown]
	global_store_dwordx4 v10, v[0:3], s[2:3]
	s_endpgm
	.section	.rodata,"a",@progbits
	.p2align	6, 0x0
	.amdhsa_kernel _Z30fast_hadamard_transform_kernelI37fast_hadamard_transform_kernel_traitsILi8ELi6EfEEv18HadamardParamsBase
		.amdhsa_group_segment_fixed_size 0
		.amdhsa_private_segment_fixed_size 0
		.amdhsa_kernarg_size 312
		.amdhsa_user_sgpr_count 6
		.amdhsa_user_sgpr_private_segment_buffer 1
		.amdhsa_user_sgpr_dispatch_ptr 0
		.amdhsa_user_sgpr_queue_ptr 0
		.amdhsa_user_sgpr_kernarg_segment_ptr 1
		.amdhsa_user_sgpr_dispatch_id 0
		.amdhsa_user_sgpr_flat_scratch_init 0
		.amdhsa_user_sgpr_private_segment_size 0
		.amdhsa_wavefront_size32 1
		.amdhsa_uses_dynamic_stack 0
		.amdhsa_system_sgpr_private_segment_wavefront_offset 0
		.amdhsa_system_sgpr_workgroup_id_x 1
		.amdhsa_system_sgpr_workgroup_id_y 0
		.amdhsa_system_sgpr_workgroup_id_z 0
		.amdhsa_system_sgpr_workgroup_info 0
		.amdhsa_system_vgpr_workitem_id 0
		.amdhsa_next_free_vgpr 23
		.amdhsa_next_free_sgpr 16
		.amdhsa_reserve_vcc 1
		.amdhsa_reserve_flat_scratch 0
		.amdhsa_float_round_mode_32 0
		.amdhsa_float_round_mode_16_64 0
		.amdhsa_float_denorm_mode_32 3
		.amdhsa_float_denorm_mode_16_64 3
		.amdhsa_dx10_clamp 1
		.amdhsa_ieee_mode 1
		.amdhsa_fp16_overflow 0
		.amdhsa_workgroup_processor_mode 1
		.amdhsa_memory_ordered 1
		.amdhsa_forward_progress 1
		.amdhsa_shared_vgpr_count 0
		.amdhsa_exception_fp_ieee_invalid_op 0
		.amdhsa_exception_fp_denorm_src 0
		.amdhsa_exception_fp_ieee_div_zero 0
		.amdhsa_exception_fp_ieee_overflow 0
		.amdhsa_exception_fp_ieee_underflow 0
		.amdhsa_exception_fp_ieee_inexact 0
		.amdhsa_exception_int_div_zero 0
	.end_amdhsa_kernel
	.section	.text._Z30fast_hadamard_transform_kernelI37fast_hadamard_transform_kernel_traitsILi8ELi6EfEEv18HadamardParamsBase,"axG",@progbits,_Z30fast_hadamard_transform_kernelI37fast_hadamard_transform_kernel_traitsILi8ELi6EfEEv18HadamardParamsBase,comdat
.Lfunc_end3:
	.size	_Z30fast_hadamard_transform_kernelI37fast_hadamard_transform_kernel_traitsILi8ELi6EfEEv18HadamardParamsBase, .Lfunc_end3-_Z30fast_hadamard_transform_kernelI37fast_hadamard_transform_kernel_traitsILi8ELi6EfEEv18HadamardParamsBase
                                        ; -- End function
	.set _Z30fast_hadamard_transform_kernelI37fast_hadamard_transform_kernel_traitsILi8ELi6EfEEv18HadamardParamsBase.num_vgpr, 23
	.set _Z30fast_hadamard_transform_kernelI37fast_hadamard_transform_kernel_traitsILi8ELi6EfEEv18HadamardParamsBase.num_agpr, 0
	.set _Z30fast_hadamard_transform_kernelI37fast_hadamard_transform_kernel_traitsILi8ELi6EfEEv18HadamardParamsBase.numbered_sgpr, 16
	.set _Z30fast_hadamard_transform_kernelI37fast_hadamard_transform_kernel_traitsILi8ELi6EfEEv18HadamardParamsBase.num_named_barrier, 0
	.set _Z30fast_hadamard_transform_kernelI37fast_hadamard_transform_kernel_traitsILi8ELi6EfEEv18HadamardParamsBase.private_seg_size, 0
	.set _Z30fast_hadamard_transform_kernelI37fast_hadamard_transform_kernel_traitsILi8ELi6EfEEv18HadamardParamsBase.uses_vcc, 1
	.set _Z30fast_hadamard_transform_kernelI37fast_hadamard_transform_kernel_traitsILi8ELi6EfEEv18HadamardParamsBase.uses_flat_scratch, 0
	.set _Z30fast_hadamard_transform_kernelI37fast_hadamard_transform_kernel_traitsILi8ELi6EfEEv18HadamardParamsBase.has_dyn_sized_stack, 0
	.set _Z30fast_hadamard_transform_kernelI37fast_hadamard_transform_kernel_traitsILi8ELi6EfEEv18HadamardParamsBase.has_recursion, 0
	.set _Z30fast_hadamard_transform_kernelI37fast_hadamard_transform_kernel_traitsILi8ELi6EfEEv18HadamardParamsBase.has_indirect_call, 0
	.section	.AMDGPU.csdata,"",@progbits
; Kernel info:
; codeLenInByte = 1096
; TotalNumSgprs: 18
; NumVgprs: 23
; ScratchSize: 0
; MemoryBound: 0
; FloatMode: 240
; IeeeMode: 1
; LDSByteSize: 0 bytes/workgroup (compile time only)
; SGPRBlocks: 0
; VGPRBlocks: 2
; NumSGPRsForWavesPerEU: 18
; NumVGPRsForWavesPerEU: 23
; Occupancy: 16
; WaveLimiterHint : 0
; COMPUTE_PGM_RSRC2:SCRATCH_EN: 0
; COMPUTE_PGM_RSRC2:USER_SGPR: 6
; COMPUTE_PGM_RSRC2:TRAP_HANDLER: 0
; COMPUTE_PGM_RSRC2:TGID_X_EN: 1
; COMPUTE_PGM_RSRC2:TGID_Y_EN: 0
; COMPUTE_PGM_RSRC2:TGID_Z_EN: 0
; COMPUTE_PGM_RSRC2:TIDIG_COMP_CNT: 0
	.section	.text._Z30fast_hadamard_transform_kernelI37fast_hadamard_transform_kernel_traitsILi16ELi7EfEEv18HadamardParamsBase,"axG",@progbits,_Z30fast_hadamard_transform_kernelI37fast_hadamard_transform_kernel_traitsILi16ELi7EfEEv18HadamardParamsBase,comdat
	.protected	_Z30fast_hadamard_transform_kernelI37fast_hadamard_transform_kernel_traitsILi16ELi7EfEEv18HadamardParamsBase ; -- Begin function _Z30fast_hadamard_transform_kernelI37fast_hadamard_transform_kernel_traitsILi16ELi7EfEEv18HadamardParamsBase
	.globl	_Z30fast_hadamard_transform_kernelI37fast_hadamard_transform_kernel_traitsILi16ELi7EfEEv18HadamardParamsBase
	.p2align	8
	.type	_Z30fast_hadamard_transform_kernelI37fast_hadamard_transform_kernel_traitsILi16ELi7EfEEv18HadamardParamsBase,@function
_Z30fast_hadamard_transform_kernelI37fast_hadamard_transform_kernel_traitsILi16ELi7EfEEv18HadamardParamsBase: ; @_Z30fast_hadamard_transform_kernelI37fast_hadamard_transform_kernel_traitsILi16ELi7EfEEv18HadamardParamsBase
; %bb.0:
	s_clause 0x3
	s_load_dwordx4 s[12:15], s[4:5], 0x10
	s_load_dword s0, s[4:5], 0x4
	s_load_dwordx4 s[8:11], s[4:5], 0x28
	s_load_dword s1, s[4:5], 0x44
	s_ashr_i32 s7, s6, 31
	v_lshlrev_b32_e32 v2, 2, v0
	v_mov_b32_e32 v1, 0
	v_mov_b32_e32 v5, 0
	;; [unrolled: 1-line block ×4, first 2 shown]
	v_lshlrev_b32_e32 v9, 4, v0
	v_mov_b32_e32 v8, 0
	s_waitcnt lgkmcnt(0)
	s_mul_hi_u32 s2, s12, s6
	s_mul_i32 s3, s12, s7
	s_mul_i32 s13, s13, s6
	s_add_i32 s3, s2, s3
	s_mul_i32 s2, s12, s6
	s_add_i32 s3, s3, s13
	v_cmp_gt_u32_e32 vcc_lo, s0, v2
	s_lshl_b64 s[2:3], s[2:3], 2
	s_add_u32 s2, s8, s2
	s_addc_u32 s3, s9, s3
	s_and_saveexec_b32 s8, vcc_lo
	s_cbranch_execz .LBB4_2
; %bb.1:
	global_load_dwordx4 v[5:8], v9, s[2:3]
.LBB4_2:
	s_or_b32 exec_lo, exec_lo, s8
	s_and_b32 s1, 0xffff, s1
	v_mov_b32_e32 v2, 0
	v_add_nc_u32_e32 v4, s1, v0
	v_mov_b32_e32 v3, 0
	v_lshlrev_b32_e32 v11, 2, v4
	v_lshlrev_b32_e32 v10, 4, v4
	v_mov_b32_e32 v4, 0
	v_cmp_gt_u32_e64 s0, s0, v11
	s_and_saveexec_b32 s1, s0
	s_cbranch_execz .LBB4_4
; %bb.3:
	global_load_dwordx4 v[1:4], v10, s[2:3]
.LBB4_4:
	s_or_b32 exec_lo, exec_lo, s1
	v_mbcnt_lo_u32_b32 v11, -1, 0
	s_waitcnt vmcnt(0)
	v_add_f32_e32 v12, v5, v6
	v_sub_f32_e32 v5, v5, v6
	v_add_f32_e32 v13, v1, v2
	v_sub_f32_e32 v1, v1, v2
	v_xor_b32_e32 v6, 1, v11
	v_add_f32_e32 v2, v7, v8
	v_sub_f32_e32 v7, v7, v8
	v_add_f32_e32 v8, v3, v4
	v_sub_f32_e32 v3, v3, v4
	v_cmp_gt_i32_e64 s1, 32, v6
	v_add_f32_e32 v14, v12, v2
	v_and_b32_e32 v4, 1, v0
	v_add_f32_e32 v15, v5, v7
	v_sub_f32_e32 v5, v5, v7
	v_cndmask_b32_e64 v6, v11, v6, s1
	v_add_f32_e32 v7, v1, v3
	v_sub_f32_e32 v1, v1, v3
	v_xor_b32_e32 v3, 2, v11
	v_cmp_eq_u32_e64 s1, 0, v4
	v_lshlrev_b32_e32 v6, 2, v6
	v_sub_f32_e32 v2, v12, v2
	v_add_f32_e32 v12, v13, v8
	v_cmp_gt_i32_e64 s2, 32, v3
	v_cndmask_b32_e64 v4, -v14, v14, s1
	ds_bpermute_b32 v17, v6, v14
	ds_bpermute_b32 v18, v6, v15
	;; [unrolled: 1-line block ×4, first 2 shown]
	v_cndmask_b32_e64 v3, v11, v3, s2
	v_sub_f32_e32 v8, v13, v8
	v_cndmask_b32_e64 v15, -v15, v15, s1
	ds_bpermute_b32 v20, v6, v12
	ds_bpermute_b32 v21, v6, v7
	v_lshlrev_b32_e32 v3, 2, v3
	v_cndmask_b32_e64 v5, -v5, v5, s1
	v_and_b32_e32 v16, 2, v0
	v_xor_b32_e32 v13, 4, v11
	v_cndmask_b32_e64 v2, -v2, v2, s1
	v_cndmask_b32_e64 v12, -v12, v12, s1
	;; [unrolled: 1-line block ×3, first 2 shown]
	s_load_dword s4, s[4:5], 0x20
	v_cmp_gt_i32_e64 s2, 32, v13
	s_mul_hi_u32 s3, s14, s6
	s_waitcnt lgkmcnt(0)
	v_add_f32_e32 v4, v4, v17
	v_add_f32_e32 v15, v15, v18
	ds_bpermute_b32 v17, v6, v8
	ds_bpermute_b32 v6, v6, v1
	v_add_f32_e32 v5, v5, v14
	ds_bpermute_b32 v18, v3, v4
	ds_bpermute_b32 v22, v3, v15
	v_cndmask_b32_e64 v8, -v8, v8, s1
	v_add_f32_e32 v2, v2, v19
	v_cndmask_b32_e64 v1, -v1, v1, s1
	v_cmp_eq_u32_e64 s1, 0, v16
	ds_bpermute_b32 v16, v3, v5
	v_cndmask_b32_e64 v13, v11, v13, s2
	ds_bpermute_b32 v14, v3, v2
	v_add_f32_e32 v12, v12, v20
	v_cndmask_b32_e64 v4, -v4, v4, s1
	v_add_f32_e32 v7, v7, v21
	v_cndmask_b32_e64 v15, -v15, v15, s1
	v_lshlrev_b32_e32 v13, 2, v13
	ds_bpermute_b32 v19, v3, v12
	v_cndmask_b32_e64 v5, -v5, v5, s1
	ds_bpermute_b32 v20, v3, v7
	s_waitcnt lgkmcnt(7)
	v_add_f32_e32 v8, v8, v17
	s_waitcnt lgkmcnt(6)
	v_add_f32_e32 v1, v1, v6
	v_cndmask_b32_e64 v2, -v2, v2, s1
	s_waitcnt lgkmcnt(5)
	v_add_f32_e32 v4, v4, v18
	s_waitcnt lgkmcnt(4)
	v_add_f32_e32 v6, v15, v22
	ds_bpermute_b32 v15, v3, v8
	ds_bpermute_b32 v3, v3, v1
	v_cndmask_b32_e64 v12, -v12, v12, s1
	ds_bpermute_b32 v17, v13, v4
	s_waitcnt lgkmcnt(6)
	v_add_f32_e32 v5, v5, v16
	v_and_b32_e32 v16, 4, v0
	s_waitcnt lgkmcnt(5)
	v_add_f32_e32 v2, v2, v14
	v_cndmask_b32_e64 v7, -v7, v7, s1
	ds_bpermute_b32 v14, v13, v6
	v_cndmask_b32_e64 v8, -v8, v8, s1
	v_cndmask_b32_e64 v1, -v1, v1, s1
	v_cmp_eq_u32_e64 s1, 0, v16
	v_xor_b32_e32 v21, 8, v11
	s_waitcnt lgkmcnt(5)
	v_add_f32_e32 v12, v12, v19
	s_waitcnt lgkmcnt(4)
	v_add_f32_e32 v7, v7, v20
	ds_bpermute_b32 v18, v13, v2
	v_cndmask_b32_e64 v4, -v4, v4, s1
	v_cmp_gt_i32_e64 s2, 32, v21
	ds_bpermute_b32 v16, v13, v5
	ds_bpermute_b32 v19, v13, v12
	s_waitcnt lgkmcnt(6)
	v_add_f32_e32 v8, v8, v15
	s_waitcnt lgkmcnt(5)
	v_add_f32_e32 v1, v1, v3
	ds_bpermute_b32 v20, v13, v7
	s_waitcnt lgkmcnt(5)
	v_add_f32_e32 v3, v4, v17
	v_cndmask_b32_e64 v4, v11, v21, s2
	v_cndmask_b32_e64 v6, -v6, v6, s1
	ds_bpermute_b32 v11, v13, v8
	ds_bpermute_b32 v13, v13, v1
	v_and_b32_e32 v0, 8, v0
	v_lshlrev_b32_e32 v4, 2, v4
	s_waitcnt lgkmcnt(6)
	v_add_f32_e32 v6, v6, v14
	v_cndmask_b32_e64 v2, -v2, v2, s1
	v_cndmask_b32_e64 v5, -v5, v5, s1
	;; [unrolled: 1-line block ×3, first 2 shown]
	ds_bpermute_b32 v14, v4, v3
	v_cndmask_b32_e64 v7, -v7, v7, s1
	v_cndmask_b32_e64 v8, -v8, v8, s1
	;; [unrolled: 1-line block ×3, first 2 shown]
	v_cmp_eq_u32_e64 s1, 0, v0
	s_waitcnt lgkmcnt(6)
	v_add_f32_e32 v2, v2, v18
	s_waitcnt lgkmcnt(5)
	v_add_f32_e32 v5, v5, v16
	;; [unrolled: 2-line block ×4, first 2 shown]
	v_cndmask_b32_e64 v0, -v3, v3, s1
	ds_bpermute_b32 v15, v4, v6
	ds_bpermute_b32 v16, v4, v2
	s_waitcnt lgkmcnt(4)
	v_add_f32_e32 v8, v8, v11
	s_waitcnt lgkmcnt(3)
	v_add_f32_e32 v11, v1, v13
	ds_bpermute_b32 v17, v4, v5
	ds_bpermute_b32 v18, v4, v12
	;; [unrolled: 1-line block ×4, first 2 shown]
	s_mul_i32 s2, s14, s7
	v_cndmask_b32_e64 v1, -v6, v6, s1
	s_waitcnt lgkmcnt(6)
	v_add_f32_e32 v0, v0, v14
	ds_bpermute_b32 v14, v4, v11
	v_cndmask_b32_e64 v2, -v2, v2, s1
	v_cndmask_b32_e64 v3, -v5, v5, s1
	;; [unrolled: 1-line block ×6, first 2 shown]
	s_add_i32 s1, s3, s2
	s_mul_i32 s2, s15, s6
	s_waitcnt lgkmcnt(6)
	v_add_f32_e32 v1, v1, v15
	s_add_i32 s3, s1, s2
	s_mul_i32 s2, s14, s6
	s_waitcnt lgkmcnt(5)
	v_add_f32_e32 v2, v2, v16
	s_waitcnt lgkmcnt(4)
	v_add_f32_e32 v3, v3, v17
	s_waitcnt lgkmcnt(3)
	v_add_f32_e32 v4, v4, v18
	s_waitcnt lgkmcnt(2)
	v_add_f32_e32 v5, v5, v19
	s_waitcnt lgkmcnt(1)
	v_add_f32_e32 v6, v6, v13
	s_lshl_b64 s[2:3], s[2:3], 2
	s_add_u32 s2, s10, s2
	s_waitcnt lgkmcnt(0)
	v_add_f32_e32 v7, v7, v14
	s_addc_u32 s3, s11, s3
	s_and_saveexec_b32 s1, vcc_lo
	s_cbranch_execnz .LBB4_7
; %bb.5:
	s_or_b32 exec_lo, exec_lo, s1
	s_and_saveexec_b32 s1, s0
	s_cbranch_execnz .LBB4_8
.LBB4_6:
	s_endpgm
.LBB4_7:
	v_add_f32_e32 v8, v3, v7
	v_add_f32_e32 v11, v2, v6
	;; [unrolled: 1-line block ×4, first 2 shown]
	v_mul_f32_e32 v14, s4, v8
	v_mul_f32_e32 v13, s4, v11
	;; [unrolled: 1-line block ×4, first 2 shown]
	global_store_dwordx4 v9, v[11:14], s[2:3]
	s_or_b32 exec_lo, exec_lo, s1
	s_and_saveexec_b32 s1, s0
	s_cbranch_execz .LBB4_6
.LBB4_8:
	v_sub_f32_e32 v0, v0, v4
	v_sub_f32_e32 v1, v1, v5
	v_sub_f32_e32 v2, v2, v6
	v_sub_f32_e32 v3, v3, v7
	v_mul_f32_e32 v0, s4, v0
	v_mul_f32_e32 v1, s4, v1
	;; [unrolled: 1-line block ×4, first 2 shown]
	global_store_dwordx4 v10, v[0:3], s[2:3]
	s_endpgm
	.section	.rodata,"a",@progbits
	.p2align	6, 0x0
	.amdhsa_kernel _Z30fast_hadamard_transform_kernelI37fast_hadamard_transform_kernel_traitsILi16ELi7EfEEv18HadamardParamsBase
		.amdhsa_group_segment_fixed_size 0
		.amdhsa_private_segment_fixed_size 0
		.amdhsa_kernarg_size 312
		.amdhsa_user_sgpr_count 6
		.amdhsa_user_sgpr_private_segment_buffer 1
		.amdhsa_user_sgpr_dispatch_ptr 0
		.amdhsa_user_sgpr_queue_ptr 0
		.amdhsa_user_sgpr_kernarg_segment_ptr 1
		.amdhsa_user_sgpr_dispatch_id 0
		.amdhsa_user_sgpr_flat_scratch_init 0
		.amdhsa_user_sgpr_private_segment_size 0
		.amdhsa_wavefront_size32 1
		.amdhsa_uses_dynamic_stack 0
		.amdhsa_system_sgpr_private_segment_wavefront_offset 0
		.amdhsa_system_sgpr_workgroup_id_x 1
		.amdhsa_system_sgpr_workgroup_id_y 0
		.amdhsa_system_sgpr_workgroup_id_z 0
		.amdhsa_system_sgpr_workgroup_info 0
		.amdhsa_system_vgpr_workitem_id 0
		.amdhsa_next_free_vgpr 23
		.amdhsa_next_free_sgpr 16
		.amdhsa_reserve_vcc 1
		.amdhsa_reserve_flat_scratch 0
		.amdhsa_float_round_mode_32 0
		.amdhsa_float_round_mode_16_64 0
		.amdhsa_float_denorm_mode_32 3
		.amdhsa_float_denorm_mode_16_64 3
		.amdhsa_dx10_clamp 1
		.amdhsa_ieee_mode 1
		.amdhsa_fp16_overflow 0
		.amdhsa_workgroup_processor_mode 1
		.amdhsa_memory_ordered 1
		.amdhsa_forward_progress 1
		.amdhsa_shared_vgpr_count 0
		.amdhsa_exception_fp_ieee_invalid_op 0
		.amdhsa_exception_fp_denorm_src 0
		.amdhsa_exception_fp_ieee_div_zero 0
		.amdhsa_exception_fp_ieee_overflow 0
		.amdhsa_exception_fp_ieee_underflow 0
		.amdhsa_exception_fp_ieee_inexact 0
		.amdhsa_exception_int_div_zero 0
	.end_amdhsa_kernel
	.section	.text._Z30fast_hadamard_transform_kernelI37fast_hadamard_transform_kernel_traitsILi16ELi7EfEEv18HadamardParamsBase,"axG",@progbits,_Z30fast_hadamard_transform_kernelI37fast_hadamard_transform_kernel_traitsILi16ELi7EfEEv18HadamardParamsBase,comdat
.Lfunc_end4:
	.size	_Z30fast_hadamard_transform_kernelI37fast_hadamard_transform_kernel_traitsILi16ELi7EfEEv18HadamardParamsBase, .Lfunc_end4-_Z30fast_hadamard_transform_kernelI37fast_hadamard_transform_kernel_traitsILi16ELi7EfEEv18HadamardParamsBase
                                        ; -- End function
	.set _Z30fast_hadamard_transform_kernelI37fast_hadamard_transform_kernel_traitsILi16ELi7EfEEv18HadamardParamsBase.num_vgpr, 23
	.set _Z30fast_hadamard_transform_kernelI37fast_hadamard_transform_kernel_traitsILi16ELi7EfEEv18HadamardParamsBase.num_agpr, 0
	.set _Z30fast_hadamard_transform_kernelI37fast_hadamard_transform_kernel_traitsILi16ELi7EfEEv18HadamardParamsBase.numbered_sgpr, 16
	.set _Z30fast_hadamard_transform_kernelI37fast_hadamard_transform_kernel_traitsILi16ELi7EfEEv18HadamardParamsBase.num_named_barrier, 0
	.set _Z30fast_hadamard_transform_kernelI37fast_hadamard_transform_kernel_traitsILi16ELi7EfEEv18HadamardParamsBase.private_seg_size, 0
	.set _Z30fast_hadamard_transform_kernelI37fast_hadamard_transform_kernel_traitsILi16ELi7EfEEv18HadamardParamsBase.uses_vcc, 1
	.set _Z30fast_hadamard_transform_kernelI37fast_hadamard_transform_kernel_traitsILi16ELi7EfEEv18HadamardParamsBase.uses_flat_scratch, 0
	.set _Z30fast_hadamard_transform_kernelI37fast_hadamard_transform_kernel_traitsILi16ELi7EfEEv18HadamardParamsBase.has_dyn_sized_stack, 0
	.set _Z30fast_hadamard_transform_kernelI37fast_hadamard_transform_kernel_traitsILi16ELi7EfEEv18HadamardParamsBase.has_recursion, 0
	.set _Z30fast_hadamard_transform_kernelI37fast_hadamard_transform_kernel_traitsILi16ELi7EfEEv18HadamardParamsBase.has_indirect_call, 0
	.section	.AMDGPU.csdata,"",@progbits
; Kernel info:
; codeLenInByte = 1324
; TotalNumSgprs: 18
; NumVgprs: 23
; ScratchSize: 0
; MemoryBound: 0
; FloatMode: 240
; IeeeMode: 1
; LDSByteSize: 0 bytes/workgroup (compile time only)
; SGPRBlocks: 0
; VGPRBlocks: 2
; NumSGPRsForWavesPerEU: 18
; NumVGPRsForWavesPerEU: 23
; Occupancy: 16
; WaveLimiterHint : 0
; COMPUTE_PGM_RSRC2:SCRATCH_EN: 0
; COMPUTE_PGM_RSRC2:USER_SGPR: 6
; COMPUTE_PGM_RSRC2:TRAP_HANDLER: 0
; COMPUTE_PGM_RSRC2:TGID_X_EN: 1
; COMPUTE_PGM_RSRC2:TGID_Y_EN: 0
; COMPUTE_PGM_RSRC2:TGID_Z_EN: 0
; COMPUTE_PGM_RSRC2:TIDIG_COMP_CNT: 0
	.section	.text._Z30fast_hadamard_transform_kernelI37fast_hadamard_transform_kernel_traitsILi32ELi8EfEEv18HadamardParamsBase,"axG",@progbits,_Z30fast_hadamard_transform_kernelI37fast_hadamard_transform_kernel_traitsILi32ELi8EfEEv18HadamardParamsBase,comdat
	.protected	_Z30fast_hadamard_transform_kernelI37fast_hadamard_transform_kernel_traitsILi32ELi8EfEEv18HadamardParamsBase ; -- Begin function _Z30fast_hadamard_transform_kernelI37fast_hadamard_transform_kernel_traitsILi32ELi8EfEEv18HadamardParamsBase
	.globl	_Z30fast_hadamard_transform_kernelI37fast_hadamard_transform_kernel_traitsILi32ELi8EfEEv18HadamardParamsBase
	.p2align	8
	.type	_Z30fast_hadamard_transform_kernelI37fast_hadamard_transform_kernel_traitsILi32ELi8EfEEv18HadamardParamsBase,@function
_Z30fast_hadamard_transform_kernelI37fast_hadamard_transform_kernel_traitsILi32ELi8EfEEv18HadamardParamsBase: ; @_Z30fast_hadamard_transform_kernelI37fast_hadamard_transform_kernel_traitsILi32ELi8EfEEv18HadamardParamsBase
; %bb.0:
	s_clause 0x3
	s_load_dwordx4 s[12:15], s[4:5], 0x10
	s_load_dword s0, s[4:5], 0x4
	s_load_dwordx4 s[8:11], s[4:5], 0x28
	s_load_dword s1, s[4:5], 0x44
	s_ashr_i32 s7, s6, 31
	v_lshlrev_b32_e32 v2, 2, v0
	v_mov_b32_e32 v1, 0
	v_mov_b32_e32 v5, 0
	;; [unrolled: 1-line block ×4, first 2 shown]
	v_lshlrev_b32_e32 v9, 4, v0
	v_mov_b32_e32 v8, 0
	s_waitcnt lgkmcnt(0)
	s_mul_hi_u32 s2, s12, s6
	s_mul_i32 s3, s12, s7
	s_mul_i32 s13, s13, s6
	s_add_i32 s3, s2, s3
	s_mul_i32 s2, s12, s6
	s_add_i32 s3, s3, s13
	v_cmp_gt_u32_e32 vcc_lo, s0, v2
	s_lshl_b64 s[2:3], s[2:3], 2
	s_add_u32 s2, s8, s2
	s_addc_u32 s3, s9, s3
	s_and_saveexec_b32 s8, vcc_lo
	s_cbranch_execz .LBB5_2
; %bb.1:
	global_load_dwordx4 v[5:8], v9, s[2:3]
.LBB5_2:
	s_or_b32 exec_lo, exec_lo, s8
	s_and_b32 s1, 0xffff, s1
	v_mov_b32_e32 v2, 0
	v_add_nc_u32_e32 v4, s1, v0
	v_mov_b32_e32 v3, 0
	v_lshlrev_b32_e32 v11, 2, v4
	v_lshlrev_b32_e32 v10, 4, v4
	v_mov_b32_e32 v4, 0
	v_cmp_gt_u32_e64 s0, s0, v11
	s_and_saveexec_b32 s1, s0
	s_cbranch_execz .LBB5_4
; %bb.3:
	global_load_dwordx4 v[1:4], v10, s[2:3]
.LBB5_4:
	s_or_b32 exec_lo, exec_lo, s1
	v_mbcnt_lo_u32_b32 v11, -1, 0
	s_waitcnt vmcnt(0)
	v_add_f32_e32 v12, v5, v6
	v_sub_f32_e32 v5, v5, v6
	v_add_f32_e32 v6, v1, v2
	v_sub_f32_e32 v1, v1, v2
	v_xor_b32_e32 v13, 1, v11
	v_add_f32_e32 v2, v7, v8
	v_sub_f32_e32 v7, v7, v8
	v_add_f32_e32 v8, v3, v4
	v_sub_f32_e32 v3, v3, v4
	v_cmp_gt_i32_e64 s1, 32, v13
	v_add_f32_e32 v4, v12, v2
	v_add_f32_e32 v14, v5, v7
	v_sub_f32_e32 v2, v12, v2
	v_sub_f32_e32 v5, v5, v7
	v_cndmask_b32_e64 v13, v11, v13, s1
	v_and_b32_e32 v7, 1, v0
	v_add_f32_e32 v18, v6, v8
	v_sub_f32_e32 v6, v6, v8
	s_load_dword s4, s[4:5], 0x20
	v_lshlrev_b32_e32 v13, 2, v13
	v_cmp_eq_u32_e64 s1, 0, v7
	v_add_f32_e32 v7, v1, v3
	v_sub_f32_e32 v1, v1, v3
	v_xor_b32_e32 v3, 2, v11
	ds_bpermute_b32 v12, v13, v4
	ds_bpermute_b32 v15, v13, v14
	;; [unrolled: 1-line block ×4, first 2 shown]
	v_cmp_gt_i32_e64 s2, 32, v3
	v_cndmask_b32_e64 v4, -v4, v4, s1
	v_cndmask_b32_e64 v8, -v14, v14, s1
	ds_bpermute_b32 v14, v13, v18
	ds_bpermute_b32 v16, v13, v2
	v_cndmask_b32_e64 v3, v11, v3, s2
	ds_bpermute_b32 v20, v13, v6
	ds_bpermute_b32 v13, v13, v1
	v_cndmask_b32_e64 v5, -v5, v5, s1
	v_cndmask_b32_e64 v7, -v7, v7, s1
	v_lshlrev_b32_e32 v3, 2, v3
	v_cndmask_b32_e64 v2, -v2, v2, s1
	v_cndmask_b32_e64 v6, -v6, v6, s1
	;; [unrolled: 1-line block ×3, first 2 shown]
	s_mul_hi_u32 s3, s14, s6
	s_waitcnt lgkmcnt(0)
	v_add_f32_e32 v4, v4, v12
	v_add_f32_e32 v8, v8, v15
	;; [unrolled: 1-line block ×3, first 2 shown]
	v_cndmask_b32_e64 v12, -v18, v18, s1
	v_and_b32_e32 v18, 2, v0
	ds_bpermute_b32 v15, v3, v4
	v_add_f32_e32 v7, v7, v19
	v_xor_b32_e32 v19, 4, v11
	v_add_f32_e32 v12, v12, v14
	v_cmp_eq_u32_e64 s1, 0, v18
	ds_bpermute_b32 v14, v3, v5
	v_add_f32_e32 v2, v2, v16
	v_cmp_gt_i32_e64 s2, 32, v19
	v_add_f32_e32 v6, v6, v20
	v_cndmask_b32_e64 v4, -v4, v4, s1
	v_add_f32_e32 v1, v1, v13
	ds_bpermute_b32 v16, v3, v8
	v_cndmask_b32_e64 v19, v11, v19, s2
	ds_bpermute_b32 v17, v3, v2
	ds_bpermute_b32 v18, v3, v12
	;; [unrolled: 1-line block ×4, first 2 shown]
	v_lshlrev_b32_e32 v13, 2, v19
	ds_bpermute_b32 v3, v3, v1
	v_cndmask_b32_e64 v5, -v5, v5, s1
	s_waitcnt lgkmcnt(7)
	v_add_f32_e32 v4, v4, v15
	v_cndmask_b32_e64 v8, -v8, v8, s1
	v_cndmask_b32_e64 v2, -v2, v2, s1
	;; [unrolled: 1-line block ×4, first 2 shown]
	ds_bpermute_b32 v15, v13, v4
	s_waitcnt lgkmcnt(7)
	v_add_f32_e32 v5, v5, v14
	v_and_b32_e32 v14, 4, v0
	v_cndmask_b32_e64 v6, -v6, v6, s1
	v_cndmask_b32_e64 v1, -v1, v1, s1
	s_waitcnt lgkmcnt(6)
	v_add_f32_e32 v8, v8, v16
	v_cmp_eq_u32_e64 s1, 0, v14
	s_waitcnt lgkmcnt(5)
	v_add_f32_e32 v2, v2, v17
	s_waitcnt lgkmcnt(4)
	v_add_f32_e32 v12, v12, v18
	;; [unrolled: 2-line block ×4, first 2 shown]
	v_cndmask_b32_e64 v4, -v4, v4, s1
	s_waitcnt lgkmcnt(1)
	v_add_f32_e32 v1, v1, v3
	ds_bpermute_b32 v16, v13, v8
	ds_bpermute_b32 v17, v13, v2
	;; [unrolled: 1-line block ×5, first 2 shown]
	v_xor_b32_e32 v18, 8, v11
	s_waitcnt lgkmcnt(5)
	v_add_f32_e32 v3, v4, v15
	ds_bpermute_b32 v15, v13, v6
	ds_bpermute_b32 v13, v13, v1
	v_cndmask_b32_e64 v8, -v8, v8, s1
	v_cmp_gt_i32_e64 s2, 32, v18
	v_cndmask_b32_e64 v2, -v2, v2, s1
	v_cndmask_b32_e64 v5, -v5, v5, s1
	v_cndmask_b32_e64 v12, -v12, v12, s1
	v_cndmask_b32_e64 v7, -v7, v7, s1
	v_cndmask_b32_e64 v18, v11, v18, s2
	v_cndmask_b32_e64 v6, -v6, v6, s1
	v_cndmask_b32_e64 v1, -v1, v1, s1
	v_xor_b32_e32 v21, 16, v11
	s_waitcnt lgkmcnt(6)
	v_add_f32_e32 v4, v8, v16
	v_lshlrev_b32_e32 v8, 2, v18
	s_waitcnt lgkmcnt(5)
	v_add_f32_e32 v2, v2, v17
	s_waitcnt lgkmcnt(4)
	v_add_f32_e32 v5, v5, v14
	;; [unrolled: 2-line block ×3, first 2 shown]
	v_and_b32_e32 v14, 8, v0
	s_waitcnt lgkmcnt(2)
	v_add_f32_e32 v7, v7, v20
	s_waitcnt lgkmcnt(1)
	v_add_f32_e32 v6, v6, v15
	;; [unrolled: 2-line block ×3, first 2 shown]
	ds_bpermute_b32 v16, v8, v3
	ds_bpermute_b32 v17, v8, v4
	ds_bpermute_b32 v18, v8, v2
	v_cmp_eq_u32_e64 s1, 0, v14
	ds_bpermute_b32 v14, v8, v5
	ds_bpermute_b32 v19, v8, v12
	ds_bpermute_b32 v20, v8, v7
	ds_bpermute_b32 v13, v8, v6
	ds_bpermute_b32 v8, v8, v1
	v_cmp_gt_i32_e64 s2, 32, v21
	v_cndmask_b32_e64 v3, -v3, v3, s1
	v_cndmask_b32_e64 v4, -v4, v4, s1
	;; [unrolled: 1-line block ×4, first 2 shown]
	v_cndmask_b32_e64 v11, v11, v21, s2
	v_cndmask_b32_e64 v12, -v12, v12, s1
	v_cndmask_b32_e64 v7, -v7, v7, s1
	;; [unrolled: 1-line block ×4, first 2 shown]
	v_lshlrev_b32_e32 v11, 2, v11
	s_waitcnt lgkmcnt(7)
	v_add_f32_e32 v3, v3, v16
	s_waitcnt lgkmcnt(6)
	v_add_f32_e32 v4, v4, v17
	s_waitcnt lgkmcnt(5)
	v_add_f32_e32 v2, v2, v18
	v_and_b32_e32 v0, 16, v0
	s_waitcnt lgkmcnt(4)
	v_add_f32_e32 v5, v5, v14
	s_waitcnt lgkmcnt(3)
	v_add_f32_e32 v12, v12, v19
	;; [unrolled: 2-line block ×5, first 2 shown]
	ds_bpermute_b32 v15, v11, v3
	ds_bpermute_b32 v14, v11, v4
	;; [unrolled: 1-line block ×8, first 2 shown]
	v_cmp_eq_u32_e64 s1, 0, v0
	s_mul_i32 s2, s14, s7
	v_cndmask_b32_e64 v0, -v3, v3, s1
	v_cndmask_b32_e64 v1, -v4, v4, s1
	;; [unrolled: 1-line block ×8, first 2 shown]
	s_add_i32 s1, s3, s2
	s_mul_i32 s2, s15, s6
	s_waitcnt lgkmcnt(7)
	v_add_f32_e32 v0, v0, v15
	s_add_i32 s3, s1, s2
	s_mul_i32 s2, s14, s6
	s_waitcnt lgkmcnt(6)
	v_add_f32_e32 v1, v1, v14
	s_waitcnt lgkmcnt(5)
	v_add_f32_e32 v2, v2, v16
	;; [unrolled: 2-line block ×7, first 2 shown]
	s_lshl_b64 s[2:3], s[2:3], 2
	s_add_u32 s2, s10, s2
	s_addc_u32 s3, s11, s3
	s_and_saveexec_b32 s1, vcc_lo
	s_cbranch_execnz .LBB5_7
; %bb.5:
	s_or_b32 exec_lo, exec_lo, s1
	s_and_saveexec_b32 s1, s0
	s_cbranch_execnz .LBB5_8
.LBB5_6:
	s_endpgm
.LBB5_7:
	v_add_f32_e32 v8, v3, v7
	v_add_f32_e32 v11, v2, v6
	;; [unrolled: 1-line block ×4, first 2 shown]
	v_mul_f32_e32 v14, s4, v8
	v_mul_f32_e32 v13, s4, v11
	;; [unrolled: 1-line block ×4, first 2 shown]
	global_store_dwordx4 v9, v[11:14], s[2:3]
	s_or_b32 exec_lo, exec_lo, s1
	s_and_saveexec_b32 s1, s0
	s_cbranch_execz .LBB5_6
.LBB5_8:
	v_sub_f32_e32 v0, v0, v4
	v_sub_f32_e32 v1, v1, v5
	;; [unrolled: 1-line block ×4, first 2 shown]
	v_mul_f32_e32 v0, s4, v0
	v_mul_f32_e32 v1, s4, v1
	;; [unrolled: 1-line block ×4, first 2 shown]
	global_store_dwordx4 v10, v[0:3], s[2:3]
	s_endpgm
	.section	.rodata,"a",@progbits
	.p2align	6, 0x0
	.amdhsa_kernel _Z30fast_hadamard_transform_kernelI37fast_hadamard_transform_kernel_traitsILi32ELi8EfEEv18HadamardParamsBase
		.amdhsa_group_segment_fixed_size 0
		.amdhsa_private_segment_fixed_size 0
		.amdhsa_kernarg_size 312
		.amdhsa_user_sgpr_count 6
		.amdhsa_user_sgpr_private_segment_buffer 1
		.amdhsa_user_sgpr_dispatch_ptr 0
		.amdhsa_user_sgpr_queue_ptr 0
		.amdhsa_user_sgpr_kernarg_segment_ptr 1
		.amdhsa_user_sgpr_dispatch_id 0
		.amdhsa_user_sgpr_flat_scratch_init 0
		.amdhsa_user_sgpr_private_segment_size 0
		.amdhsa_wavefront_size32 1
		.amdhsa_uses_dynamic_stack 0
		.amdhsa_system_sgpr_private_segment_wavefront_offset 0
		.amdhsa_system_sgpr_workgroup_id_x 1
		.amdhsa_system_sgpr_workgroup_id_y 0
		.amdhsa_system_sgpr_workgroup_id_z 0
		.amdhsa_system_sgpr_workgroup_info 0
		.amdhsa_system_vgpr_workitem_id 0
		.amdhsa_next_free_vgpr 22
		.amdhsa_next_free_sgpr 16
		.amdhsa_reserve_vcc 1
		.amdhsa_reserve_flat_scratch 0
		.amdhsa_float_round_mode_32 0
		.amdhsa_float_round_mode_16_64 0
		.amdhsa_float_denorm_mode_32 3
		.amdhsa_float_denorm_mode_16_64 3
		.amdhsa_dx10_clamp 1
		.amdhsa_ieee_mode 1
		.amdhsa_fp16_overflow 0
		.amdhsa_workgroup_processor_mode 1
		.amdhsa_memory_ordered 1
		.amdhsa_forward_progress 1
		.amdhsa_shared_vgpr_count 0
		.amdhsa_exception_fp_ieee_invalid_op 0
		.amdhsa_exception_fp_denorm_src 0
		.amdhsa_exception_fp_ieee_div_zero 0
		.amdhsa_exception_fp_ieee_overflow 0
		.amdhsa_exception_fp_ieee_underflow 0
		.amdhsa_exception_fp_ieee_inexact 0
		.amdhsa_exception_int_div_zero 0
	.end_amdhsa_kernel
	.section	.text._Z30fast_hadamard_transform_kernelI37fast_hadamard_transform_kernel_traitsILi32ELi8EfEEv18HadamardParamsBase,"axG",@progbits,_Z30fast_hadamard_transform_kernelI37fast_hadamard_transform_kernel_traitsILi32ELi8EfEEv18HadamardParamsBase,comdat
.Lfunc_end5:
	.size	_Z30fast_hadamard_transform_kernelI37fast_hadamard_transform_kernel_traitsILi32ELi8EfEEv18HadamardParamsBase, .Lfunc_end5-_Z30fast_hadamard_transform_kernelI37fast_hadamard_transform_kernel_traitsILi32ELi8EfEEv18HadamardParamsBase
                                        ; -- End function
	.set _Z30fast_hadamard_transform_kernelI37fast_hadamard_transform_kernel_traitsILi32ELi8EfEEv18HadamardParamsBase.num_vgpr, 22
	.set _Z30fast_hadamard_transform_kernelI37fast_hadamard_transform_kernel_traitsILi32ELi8EfEEv18HadamardParamsBase.num_agpr, 0
	.set _Z30fast_hadamard_transform_kernelI37fast_hadamard_transform_kernel_traitsILi32ELi8EfEEv18HadamardParamsBase.numbered_sgpr, 16
	.set _Z30fast_hadamard_transform_kernelI37fast_hadamard_transform_kernel_traitsILi32ELi8EfEEv18HadamardParamsBase.num_named_barrier, 0
	.set _Z30fast_hadamard_transform_kernelI37fast_hadamard_transform_kernel_traitsILi32ELi8EfEEv18HadamardParamsBase.private_seg_size, 0
	.set _Z30fast_hadamard_transform_kernelI37fast_hadamard_transform_kernel_traitsILi32ELi8EfEEv18HadamardParamsBase.uses_vcc, 1
	.set _Z30fast_hadamard_transform_kernelI37fast_hadamard_transform_kernel_traitsILi32ELi8EfEEv18HadamardParamsBase.uses_flat_scratch, 0
	.set _Z30fast_hadamard_transform_kernelI37fast_hadamard_transform_kernel_traitsILi32ELi8EfEEv18HadamardParamsBase.has_dyn_sized_stack, 0
	.set _Z30fast_hadamard_transform_kernelI37fast_hadamard_transform_kernel_traitsILi32ELi8EfEEv18HadamardParamsBase.has_recursion, 0
	.set _Z30fast_hadamard_transform_kernelI37fast_hadamard_transform_kernel_traitsILi32ELi8EfEEv18HadamardParamsBase.has_indirect_call, 0
	.section	.AMDGPU.csdata,"",@progbits
; Kernel info:
; codeLenInByte = 1544
; TotalNumSgprs: 18
; NumVgprs: 22
; ScratchSize: 0
; MemoryBound: 0
; FloatMode: 240
; IeeeMode: 1
; LDSByteSize: 0 bytes/workgroup (compile time only)
; SGPRBlocks: 0
; VGPRBlocks: 2
; NumSGPRsForWavesPerEU: 18
; NumVGPRsForWavesPerEU: 22
; Occupancy: 16
; WaveLimiterHint : 0
; COMPUTE_PGM_RSRC2:SCRATCH_EN: 0
; COMPUTE_PGM_RSRC2:USER_SGPR: 6
; COMPUTE_PGM_RSRC2:TRAP_HANDLER: 0
; COMPUTE_PGM_RSRC2:TGID_X_EN: 1
; COMPUTE_PGM_RSRC2:TGID_Y_EN: 0
; COMPUTE_PGM_RSRC2:TGID_Z_EN: 0
; COMPUTE_PGM_RSRC2:TIDIG_COMP_CNT: 0
	.section	.text._Z30fast_hadamard_transform_kernelI37fast_hadamard_transform_kernel_traitsILi32ELi9EfEEv18HadamardParamsBase,"axG",@progbits,_Z30fast_hadamard_transform_kernelI37fast_hadamard_transform_kernel_traitsILi32ELi9EfEEv18HadamardParamsBase,comdat
	.protected	_Z30fast_hadamard_transform_kernelI37fast_hadamard_transform_kernel_traitsILi32ELi9EfEEv18HadamardParamsBase ; -- Begin function _Z30fast_hadamard_transform_kernelI37fast_hadamard_transform_kernel_traitsILi32ELi9EfEEv18HadamardParamsBase
	.globl	_Z30fast_hadamard_transform_kernelI37fast_hadamard_transform_kernel_traitsILi32ELi9EfEEv18HadamardParamsBase
	.p2align	8
	.type	_Z30fast_hadamard_transform_kernelI37fast_hadamard_transform_kernel_traitsILi32ELi9EfEEv18HadamardParamsBase,@function
_Z30fast_hadamard_transform_kernelI37fast_hadamard_transform_kernel_traitsILi32ELi9EfEEv18HadamardParamsBase: ; @_Z30fast_hadamard_transform_kernelI37fast_hadamard_transform_kernel_traitsILi32ELi9EfEEv18HadamardParamsBase
; %bb.0:
	s_clause 0x3
	s_load_dwordx4 s[12:15], s[4:5], 0x10
	s_load_dword s2, s[4:5], 0x4
	s_load_dwordx4 s[8:11], s[4:5], 0x28
	s_load_dword s0, s[4:5], 0x44
	s_ashr_i32 s7, s6, 31
	v_lshlrev_b32_e32 v2, 2, v0
	v_mov_b32_e32 v1, 0
	v_mov_b32_e32 v5, 0
	;; [unrolled: 1-line block ×4, first 2 shown]
	v_lshlrev_b32_e32 v17, 4, v0
	v_mov_b32_e32 v8, 0
	s_waitcnt lgkmcnt(0)
	s_mul_hi_u32 s1, s12, s6
	s_mul_i32 s3, s12, s7
	s_mul_i32 s13, s13, s6
	s_add_i32 s1, s1, s3
	s_mul_i32 s12, s12, s6
	s_add_i32 s13, s1, s13
	v_cmp_gt_u32_e32 vcc_lo, s2, v2
	s_lshl_b64 s[12:13], s[12:13], 2
	s_add_u32 s8, s8, s12
	s_addc_u32 s9, s9, s13
	s_and_saveexec_b32 s1, vcc_lo
	s_cbranch_execz .LBB6_2
; %bb.1:
	global_load_dwordx4 v[5:8], v17, s[8:9]
.LBB6_2:
	s_or_b32 exec_lo, exec_lo, s1
	s_and_b32 s3, 0xffff, s0
	v_mov_b32_e32 v2, 0
	v_add_nc_u32_e32 v9, s3, v0
	v_mov_b32_e32 v3, 0
	v_lshlrev_b32_e32 v4, 2, v9
	v_lshlrev_b32_e32 v18, 4, v9
	v_cmp_gt_u32_e64 s0, s2, v4
	v_mov_b32_e32 v4, 0
	s_and_saveexec_b32 s1, s0
	s_cbranch_execz .LBB6_4
; %bb.3:
	global_load_dwordx4 v[1:4], v18, s[8:9]
.LBB6_4:
	s_or_b32 exec_lo, exec_lo, s1
	v_add_nc_u32_e32 v10, s3, v9
	v_mov_b32_e32 v9, 0
	v_mov_b32_e32 v13, 0
	;; [unrolled: 1-line block ×4, first 2 shown]
	v_lshlrev_b32_e32 v11, 2, v10
	v_lshlrev_b32_e32 v19, 4, v10
	v_mov_b32_e32 v16, 0
	v_cmp_gt_u32_e64 s1, s2, v11
	s_and_saveexec_b32 s12, s1
	s_cbranch_execz .LBB6_6
; %bb.5:
	global_load_dwordx4 v[13:16], v19, s[8:9]
.LBB6_6:
	s_or_b32 exec_lo, exec_lo, s12
	v_add_nc_u32_e32 v12, s3, v10
	v_mov_b32_e32 v10, 0
	v_mov_b32_e32 v11, 0
	v_lshlrev_b32_e32 v21, 2, v12
	v_lshlrev_b32_e32 v20, 4, v12
	v_mov_b32_e32 v12, 0
	v_cmp_gt_u32_e64 s2, s2, v21
	s_and_saveexec_b32 s3, s2
	s_cbranch_execz .LBB6_8
; %bb.7:
	global_load_dwordx4 v[9:12], v20, s[8:9]
.LBB6_8:
	s_or_b32 exec_lo, exec_lo, s3
	v_mbcnt_lo_u32_b32 v22, -1, 0
	s_waitcnt vmcnt(0)
	v_add_f32_e32 v21, v5, v6
	v_sub_f32_e32 v5, v5, v6
	v_add_f32_e32 v6, v1, v2
	v_sub_f32_e32 v1, v1, v2
	v_xor_b32_e32 v23, 1, v22
	v_add_f32_e32 v2, v13, v14
	v_sub_f32_e32 v13, v13, v14
	v_add_f32_e32 v14, v9, v10
	v_sub_f32_e32 v9, v9, v10
	v_cmp_gt_i32_e64 s3, 32, v23
	v_add_f32_e32 v10, v7, v8
	v_sub_f32_e32 v7, v7, v8
	v_add_f32_e32 v8, v3, v4
	v_sub_f32_e32 v3, v3, v4
	v_cndmask_b32_e64 v23, v22, v23, s3
	v_add_f32_e32 v4, v15, v16
	v_sub_f32_e32 v15, v15, v16
	v_add_f32_e32 v16, v11, v12
	v_sub_f32_e32 v11, v11, v12
	;; [unrolled: 2-line block ×3, first 2 shown]
	v_lshlrev_b32_e32 v23, 2, v23
	v_add_f32_e32 v24, v5, v7
	v_sub_f32_e32 v5, v5, v7
	v_and_b32_e32 v7, 1, v0
	v_add_f32_e32 v21, v6, v8
	v_sub_f32_e32 v6, v6, v8
	v_add_f32_e32 v8, v2, v4
	v_sub_f32_e32 v2, v2, v4
	;; [unrolled: 2-line block ×3, first 2 shown]
	ds_bpermute_b32 v16, v23, v12
	ds_bpermute_b32 v25, v23, v24
	;; [unrolled: 1-line block ×3, first 2 shown]
	v_add_f32_e32 v27, v1, v3
	v_cmp_eq_u32_e64 s3, 0, v7
	v_sub_f32_e32 v1, v1, v3
	v_add_f32_e32 v3, v13, v15
	v_sub_f32_e32 v13, v13, v15
	ds_bpermute_b32 v15, v23, v21
	v_cndmask_b32_e64 v7, -v12, v12, s3
	ds_bpermute_b32 v12, v23, v5
	ds_bpermute_b32 v28, v23, v27
	v_cndmask_b32_e64 v24, -v24, v24, s3
	v_cndmask_b32_e64 v10, -v10, v10, s3
	v_add_f32_e32 v31, v9, v11
	v_sub_f32_e32 v9, v9, v11
	v_cndmask_b32_e64 v5, -v5, v5, s3
	s_load_dword s8, s[4:5], 0x20
	ds_bpermute_b32 v30, v23, v1
	ds_bpermute_b32 v29, v23, v6
	s_waitcnt lgkmcnt(0)
	v_add_f32_e32 v7, v7, v16
	v_add_f32_e32 v11, v24, v25
	v_add_f32_e32 v10, v10, v26
	v_cndmask_b32_e64 v16, -v21, v21, s3
	ds_bpermute_b32 v21, v23, v8
	ds_bpermute_b32 v24, v23, v3
	v_cndmask_b32_e64 v26, -v27, v27, s3
	ds_bpermute_b32 v27, v23, v4
	ds_bpermute_b32 v25, v23, v2
	v_cndmask_b32_e64 v8, -v8, v8, s3
	v_add_f32_e32 v5, v5, v12
	v_add_f32_e32 v12, v16, v15
	;; [unrolled: 1-line block ×3, first 2 shown]
	ds_bpermute_b32 v16, v23, v13
	v_xor_b32_e32 v26, 2, v22
	v_cndmask_b32_e64 v3, -v3, v3, s3
	ds_bpermute_b32 v28, v23, v31
	v_cndmask_b32_e64 v13, -v13, v13, s3
	v_cndmask_b32_e64 v1, -v1, v1, s3
	v_cmp_gt_i32_e64 s4, 32, v26
	v_cndmask_b32_e64 v4, -v4, v4, s3
	v_cndmask_b32_e64 v2, -v2, v2, s3
	;; [unrolled: 1-line block ×3, first 2 shown]
	v_add_f32_e32 v1, v1, v30
	v_cndmask_b32_e64 v26, v22, v26, s4
	s_waitcnt lgkmcnt(5)
	v_add_f32_e32 v8, v8, v21
	s_waitcnt lgkmcnt(4)
	v_add_f32_e32 v3, v3, v24
	ds_bpermute_b32 v24, v23, v14
	ds_bpermute_b32 v23, v23, v9
	v_lshlrev_b32_e32 v21, 2, v26
	v_and_b32_e32 v30, 2, v0
	s_waitcnt lgkmcnt(5)
	v_add_f32_e32 v4, v4, v27
	s_waitcnt lgkmcnt(4)
	v_add_f32_e32 v2, v2, v25
	;; [unrolled: 2-line block ×3, first 2 shown]
	ds_bpermute_b32 v16, v21, v10
	ds_bpermute_b32 v27, v21, v5
	v_cndmask_b32_e64 v25, -v31, v31, s3
	v_cndmask_b32_e64 v14, -v14, v14, s3
	;; [unrolled: 1-line block ×3, first 2 shown]
	v_cmp_eq_u32_e64 s3, 0, v30
	v_add_f32_e32 v6, v6, v29
	ds_bpermute_b32 v26, v21, v7
	ds_bpermute_b32 v29, v21, v11
	s_waitcnt lgkmcnt(6)
	v_add_f32_e32 v25, v25, v28
	v_cndmask_b32_e64 v10, -v10, v10, s3
	ds_bpermute_b32 v28, v21, v12
	v_cndmask_b32_e64 v5, -v5, v5, s3
	s_waitcnt lgkmcnt(6)
	v_add_f32_e32 v14, v14, v24
	s_waitcnt lgkmcnt(5)
	v_add_f32_e32 v9, v9, v23
	ds_bpermute_b32 v23, v21, v8
	ds_bpermute_b32 v24, v21, v2
	;; [unrolled: 1-line block ×3, first 2 shown]
	v_cndmask_b32_e64 v8, -v8, v8, s3
	ds_bpermute_b32 v31, v21, v6
	s_waitcnt lgkmcnt(8)
	v_add_f32_e32 v10, v10, v16
	ds_bpermute_b32 v16, v21, v3
	s_waitcnt lgkmcnt(8)
	v_add_f32_e32 v5, v5, v27
	v_xor_b32_e32 v27, 4, v22
	v_cndmask_b32_e64 v7, -v7, v7, s3
	v_cndmask_b32_e64 v11, -v11, v11, s3
	;; [unrolled: 1-line block ×4, first 2 shown]
	v_cmp_gt_i32_e64 s4, 32, v27
	ds_bpermute_b32 v32, v21, v1
	s_waitcnt lgkmcnt(8)
	v_add_f32_e32 v7, v7, v26
	s_waitcnt lgkmcnt(7)
	v_add_f32_e32 v11, v11, v29
	;; [unrolled: 2-line block ×3, first 2 shown]
	ds_bpermute_b32 v26, v21, v13
	ds_bpermute_b32 v28, v21, v4
	s_waitcnt lgkmcnt(7)
	v_add_f32_e32 v8, v8, v23
	v_cndmask_b32_e64 v23, v22, v27, s4
	ds_bpermute_b32 v29, v21, v25
	v_cndmask_b32_e64 v2, -v2, v2, s3
	v_cndmask_b32_e64 v15, -v15, v15, s3
	;; [unrolled: 1-line block ×3, first 2 shown]
	s_waitcnt lgkmcnt(4)
	v_add_f32_e32 v3, v3, v16
	v_lshlrev_b32_e32 v16, 2, v23
	v_cndmask_b32_e64 v23, -v25, v25, s3
	ds_bpermute_b32 v25, v21, v14
	ds_bpermute_b32 v21, v21, v9
	v_add_f32_e32 v2, v2, v24
	ds_bpermute_b32 v24, v16, v5
	v_add_f32_e32 v15, v15, v30
	v_and_b32_e32 v27, 4, v0
	ds_bpermute_b32 v30, v16, v7
	v_add_f32_e32 v6, v6, v31
	v_cndmask_b32_e64 v13, -v13, v13, s3
	v_cndmask_b32_e64 v4, -v4, v4, s3
	v_cmp_eq_u32_e64 s4, 0, v27
	v_cndmask_b32_e64 v9, -v9, v9, s3
	v_cndmask_b32_e64 v1, -v1, v1, s3
	ds_bpermute_b32 v31, v16, v11
	s_waitcnt lgkmcnt(7)
	v_add_f32_e32 v13, v13, v26
	s_waitcnt lgkmcnt(6)
	v_add_f32_e32 v4, v4, v28
	v_cndmask_b32_e64 v14, -v14, v14, s3
	ds_bpermute_b32 v26, v16, v12
	ds_bpermute_b32 v27, v16, v15
	;; [unrolled: 1-line block ×3, first 2 shown]
	v_cndmask_b32_e64 v5, -v5, v5, s4
	s_waitcnt lgkmcnt(6)
	v_add_f32_e32 v9, v9, v21
	ds_bpermute_b32 v21, v16, v8
	v_add_f32_e32 v1, v1, v32
	ds_bpermute_b32 v32, v16, v10
	v_cndmask_b32_e64 v7, -v7, v7, s4
	v_add_f32_e32 v14, v14, v25
	ds_bpermute_b32 v25, v16, v3
	s_waitcnt lgkmcnt(8)
	v_add_f32_e32 v5, v5, v24
	v_xor_b32_e32 v24, 8, v22
	v_add_f32_e32 v23, v23, v29
	ds_bpermute_b32 v29, v16, v1
	s_waitcnt lgkmcnt(8)
	v_add_f32_e32 v7, v7, v30
	ds_bpermute_b32 v30, v16, v2
	v_cmp_gt_i32_e64 s3, 32, v24
	v_cndmask_b32_e64 v11, -v11, v11, s4
	v_cndmask_b32_e64 v12, -v12, v12, s4
	;; [unrolled: 1-line block ×5, first 2 shown]
	v_cndmask_b32_e64 v24, v22, v24, s3
	v_cndmask_b32_e64 v10, -v10, v10, s4
	s_waitcnt lgkmcnt(8)
	v_add_f32_e32 v11, v11, v31
	ds_bpermute_b32 v31, v16, v13
	s_waitcnt lgkmcnt(8)
	v_add_f32_e32 v12, v12, v26
	s_waitcnt lgkmcnt(7)
	v_add_f32_e32 v15, v15, v27
	s_waitcnt lgkmcnt(6)
	v_add_f32_e32 v6, v6, v28
	v_cndmask_b32_e64 v3, -v3, v3, s4
	ds_bpermute_b32 v26, v16, v4
	ds_bpermute_b32 v27, v16, v23
	;; [unrolled: 1-line block ×4, first 2 shown]
	s_waitcnt lgkmcnt(9)
	v_add_f32_e32 v8, v8, v21
	v_lshlrev_b32_e32 v21, 2, v24
	s_waitcnt lgkmcnt(8)
	v_add_f32_e32 v10, v10, v32
	v_cndmask_b32_e64 v1, -v1, v1, s4
	v_cndmask_b32_e64 v2, -v2, v2, s4
	s_waitcnt lgkmcnt(7)
	v_add_f32_e32 v3, v3, v25
	ds_bpermute_b32 v25, v21, v7
	v_and_b32_e32 v24, 8, v0
	s_waitcnt lgkmcnt(7)
	v_add_f32_e32 v1, v1, v29
	s_waitcnt lgkmcnt(6)
	v_add_f32_e32 v2, v2, v30
	ds_bpermute_b32 v29, v21, v11
	ds_bpermute_b32 v30, v21, v10
	v_cndmask_b32_e64 v4, -v4, v4, s4
	v_cndmask_b32_e64 v9, -v9, v9, s4
	v_cmp_eq_u32_e64 s3, 0, v24
	v_cndmask_b32_e64 v13, -v13, v13, s4
	v_cndmask_b32_e64 v14, -v14, v14, s4
	s_waitcnt lgkmcnt(6)
	v_add_f32_e32 v4, v4, v26
	ds_bpermute_b32 v26, v21, v1
	s_waitcnt lgkmcnt(4)
	v_add_f32_e32 v9, v9, v16
	v_cndmask_b32_e64 v7, -v7, v7, s3
	ds_bpermute_b32 v16, v21, v15
	v_add_f32_e32 v13, v13, v31
	v_cndmask_b32_e64 v23, -v23, v23, s4
	ds_bpermute_b32 v32, v21, v12
	;; [unrolled: 3-line block ×3, first 2 shown]
	v_cndmask_b32_e64 v10, -v10, v10, s3
	s_waitcnt lgkmcnt(6)
	v_add_f32_e32 v7, v7, v25
	ds_bpermute_b32 v25, v21, v3
	ds_bpermute_b32 v28, v21, v2
	v_add_f32_e32 v23, v23, v27
	ds_bpermute_b32 v27, v21, v8
	s_waitcnt lgkmcnt(8)
	v_add_f32_e32 v11, v11, v29
	s_waitcnt lgkmcnt(7)
	v_add_f32_e32 v10, v10, v30
	ds_bpermute_b32 v29, v21, v13
	v_xor_b32_e32 v30, 16, v22
	v_cndmask_b32_e64 v15, -v15, v15, s3
	v_cndmask_b32_e64 v1, -v1, v1, s3
	ds_bpermute_b32 v31, v21, v5
	v_cndmask_b32_e64 v12, -v12, v12, s3
	v_cmp_gt_i32_e64 s4, 32, v30
	v_cndmask_b32_e64 v6, -v6, v6, s3
	s_waitcnt lgkmcnt(7)
	v_add_f32_e32 v15, v15, v16
	v_add_f32_e32 v16, v1, v26
	v_cndmask_b32_e64 v3, -v3, v3, s3
	v_cndmask_b32_e64 v1, v22, v30, s4
	v_cndmask_b32_e64 v2, -v2, v2, s3
	v_and_b32_e32 v0, 16, v0
	v_cndmask_b32_e64 v5, -v5, v5, s3
	s_waitcnt lgkmcnt(6)
	v_add_f32_e32 v12, v12, v32
	v_cndmask_b32_e64 v8, -v8, v8, s3
	s_waitcnt lgkmcnt(5)
	v_add_f32_e32 v6, v6, v24
	v_cndmask_b32_e64 v13, -v13, v13, s3
	v_lshlrev_b32_e32 v22, 2, v1
	ds_bpermute_b32 v1, v21, v4
	ds_bpermute_b32 v24, v21, v23
	;; [unrolled: 1-line block ×4, first 2 shown]
	s_waitcnt lgkmcnt(8)
	v_add_f32_e32 v25, v3, v25
	s_waitcnt lgkmcnt(7)
	v_add_f32_e32 v28, v2, v28
	v_cndmask_b32_e64 v2, -v4, v4, s3
	v_cndmask_b32_e64 v3, -v23, v23, s3
	;; [unrolled: 1-line block ×4, first 2 shown]
	v_cmp_eq_u32_e64 s3, 0, v0
	s_waitcnt lgkmcnt(6)
	v_add_f32_e32 v8, v8, v27
	ds_bpermute_b32 v27, v22, v7
	s_waitcnt lgkmcnt(6)
	v_add_f32_e32 v13, v13, v29
	ds_bpermute_b32 v29, v22, v12
	v_cndmask_b32_e64 v0, -v7, v7, s3
	ds_bpermute_b32 v7, v22, v11
	ds_bpermute_b32 v30, v22, v15
	s_waitcnt lgkmcnt(8)
	v_add_f32_e32 v5, v5, v31
	ds_bpermute_b32 v14, v22, v10
	s_waitcnt lgkmcnt(8)
	v_add_f32_e32 v31, v2, v1
	s_waitcnt lgkmcnt(7)
	v_add_f32_e32 v24, v3, v24
	s_waitcnt lgkmcnt(6)
	v_add_f32_e32 v26, v4, v26
	ds_bpermute_b32 v23, v22, v5
	s_waitcnt lgkmcnt(6)
	v_add_f32_e32 v9, v9, v21
	v_cndmask_b32_e64 v1, -v11, v11, s3
	v_cndmask_b32_e64 v2, -v10, v10, s3
	;; [unrolled: 1-line block ×5, first 2 shown]
	ds_bpermute_b32 v10, v22, v6
	ds_bpermute_b32 v11, v22, v16
	ds_bpermute_b32 v12, v22, v8
	s_waitcnt lgkmcnt(8)
	v_add_f32_e32 v0, v0, v27
	ds_bpermute_b32 v21, v22, v25
	ds_bpermute_b32 v27, v22, v28
	s_waitcnt lgkmcnt(8)
	v_add_f32_e32 v1, v1, v7
	v_add_f32_e32 v4, v4, v29
	s_waitcnt lgkmcnt(7)
	v_add_f32_e32 v5, v5, v30
	ds_bpermute_b32 v7, v22, v13
	ds_bpermute_b32 v29, v22, v31
	;; [unrolled: 1-line block ×5, first 2 shown]
	v_cndmask_b32_e64 v6, -v6, v6, s3
	v_cndmask_b32_e64 v15, -v16, v16, s3
	;; [unrolled: 1-line block ×3, first 2 shown]
	s_waitcnt lgkmcnt(11)
	v_add_f32_e32 v2, v2, v14
	s_waitcnt lgkmcnt(10)
	v_add_f32_e32 v3, v3, v23
	v_cndmask_b32_e64 v22, -v25, v25, s3
	v_cndmask_b32_e64 v23, -v28, v28, s3
	s_waitcnt lgkmcnt(9)
	v_add_f32_e32 v14, v6, v10
	s_waitcnt lgkmcnt(8)
	v_add_f32_e32 v15, v15, v11
	;; [unrolled: 2-line block ×3, first 2 shown]
	v_cndmask_b32_e64 v6, -v13, v13, s3
	v_cndmask_b32_e64 v8, -v31, v31, s3
	;; [unrolled: 1-line block ×5, first 2 shown]
	s_mul_i32 s3, s14, s7
	s_mul_hi_u32 s4, s14, s6
	s_waitcnt lgkmcnt(6)
	v_add_f32_e32 v21, v22, v21
	s_waitcnt lgkmcnt(5)
	v_add_f32_e32 v22, v23, v27
	;; [unrolled: 2-line block ×7, first 2 shown]
	s_add_i32 s3, s4, s3
	s_mul_i32 s4, s15, s6
	v_add_f32_e32 v6, v0, v4
	s_add_i32 s5, s3, s4
	s_mul_i32 s4, s14, s6
	v_add_f32_e32 v7, v1, v5
	v_add_f32_e32 v8, v2, v14
	;; [unrolled: 1-line block ×7, first 2 shown]
	s_lshl_b64 s[4:5], s[4:5], 2
	s_add_u32 s4, s10, s4
	s_addc_u32 s5, s11, s5
	s_and_saveexec_b32 s3, vcc_lo
	s_cbranch_execz .LBB6_10
; %bb.9:
	v_add_f32_e32 v28, v9, v13
	v_add_f32_e32 v29, v8, v12
	v_add_f32_e32 v32, v7, v11
	v_add_f32_e32 v33, v6, v10
	v_mul_f32_e32 v31, s8, v28
	v_mul_f32_e32 v30, s8, v29
	;; [unrolled: 1-line block ×4, first 2 shown]
	global_store_dwordx4 v17, v[28:31], s[4:5]
.LBB6_10:
	s_or_b32 exec_lo, exec_lo, s3
	v_sub_f32_e32 v0, v0, v4
	v_sub_f32_e32 v1, v1, v5
	;; [unrolled: 1-line block ×8, first 2 shown]
	s_and_saveexec_b32 s3, s0
	s_cbranch_execnz .LBB6_14
; %bb.11:
	s_or_b32 exec_lo, exec_lo, s3
	s_and_saveexec_b32 s0, s1
	s_cbranch_execnz .LBB6_15
.LBB6_12:
	s_or_b32 exec_lo, exec_lo, s0
	s_and_saveexec_b32 s0, s2
	s_cbranch_execnz .LBB6_16
.LBB6_13:
	s_endpgm
.LBB6_14:
	v_add_f32_e32 v16, v0, v4
	v_add_f32_e32 v17, v1, v5
	;; [unrolled: 1-line block ×4, first 2 shown]
	v_mul_f32_e32 v21, s8, v16
	v_mul_f32_e32 v22, s8, v17
	;; [unrolled: 1-line block ×4, first 2 shown]
	global_store_dwordx4 v18, v[21:24], s[4:5]
	s_or_b32 exec_lo, exec_lo, s3
	s_and_saveexec_b32 s0, s1
	s_cbranch_execz .LBB6_12
.LBB6_15:
	v_sub_f32_e32 v6, v6, v10
	v_sub_f32_e32 v7, v7, v11
	;; [unrolled: 1-line block ×4, first 2 shown]
	v_mul_f32_e32 v6, s8, v6
	v_mul_f32_e32 v7, s8, v7
	;; [unrolled: 1-line block ×4, first 2 shown]
	global_store_dwordx4 v19, v[6:9], s[4:5]
	s_or_b32 exec_lo, exec_lo, s0
	s_and_saveexec_b32 s0, s2
	s_cbranch_execz .LBB6_13
.LBB6_16:
	v_sub_f32_e32 v0, v0, v4
	v_sub_f32_e32 v1, v1, v5
	v_sub_f32_e32 v2, v2, v14
	v_sub_f32_e32 v3, v3, v15
	v_mul_f32_e32 v0, s8, v0
	v_mul_f32_e32 v1, s8, v1
	;; [unrolled: 1-line block ×4, first 2 shown]
	global_store_dwordx4 v20, v[0:3], s[4:5]
	s_endpgm
	.section	.rodata,"a",@progbits
	.p2align	6, 0x0
	.amdhsa_kernel _Z30fast_hadamard_transform_kernelI37fast_hadamard_transform_kernel_traitsILi32ELi9EfEEv18HadamardParamsBase
		.amdhsa_group_segment_fixed_size 0
		.amdhsa_private_segment_fixed_size 0
		.amdhsa_kernarg_size 312
		.amdhsa_user_sgpr_count 6
		.amdhsa_user_sgpr_private_segment_buffer 1
		.amdhsa_user_sgpr_dispatch_ptr 0
		.amdhsa_user_sgpr_queue_ptr 0
		.amdhsa_user_sgpr_kernarg_segment_ptr 1
		.amdhsa_user_sgpr_dispatch_id 0
		.amdhsa_user_sgpr_flat_scratch_init 0
		.amdhsa_user_sgpr_private_segment_size 0
		.amdhsa_wavefront_size32 1
		.amdhsa_uses_dynamic_stack 0
		.amdhsa_system_sgpr_private_segment_wavefront_offset 0
		.amdhsa_system_sgpr_workgroup_id_x 1
		.amdhsa_system_sgpr_workgroup_id_y 0
		.amdhsa_system_sgpr_workgroup_id_z 0
		.amdhsa_system_sgpr_workgroup_info 0
		.amdhsa_system_vgpr_workitem_id 0
		.amdhsa_next_free_vgpr 34
		.amdhsa_next_free_sgpr 16
		.amdhsa_reserve_vcc 1
		.amdhsa_reserve_flat_scratch 0
		.amdhsa_float_round_mode_32 0
		.amdhsa_float_round_mode_16_64 0
		.amdhsa_float_denorm_mode_32 3
		.amdhsa_float_denorm_mode_16_64 3
		.amdhsa_dx10_clamp 1
		.amdhsa_ieee_mode 1
		.amdhsa_fp16_overflow 0
		.amdhsa_workgroup_processor_mode 1
		.amdhsa_memory_ordered 1
		.amdhsa_forward_progress 1
		.amdhsa_shared_vgpr_count 0
		.amdhsa_exception_fp_ieee_invalid_op 0
		.amdhsa_exception_fp_denorm_src 0
		.amdhsa_exception_fp_ieee_div_zero 0
		.amdhsa_exception_fp_ieee_overflow 0
		.amdhsa_exception_fp_ieee_underflow 0
		.amdhsa_exception_fp_ieee_inexact 0
		.amdhsa_exception_int_div_zero 0
	.end_amdhsa_kernel
	.section	.text._Z30fast_hadamard_transform_kernelI37fast_hadamard_transform_kernel_traitsILi32ELi9EfEEv18HadamardParamsBase,"axG",@progbits,_Z30fast_hadamard_transform_kernelI37fast_hadamard_transform_kernel_traitsILi32ELi9EfEEv18HadamardParamsBase,comdat
.Lfunc_end6:
	.size	_Z30fast_hadamard_transform_kernelI37fast_hadamard_transform_kernel_traitsILi32ELi9EfEEv18HadamardParamsBase, .Lfunc_end6-_Z30fast_hadamard_transform_kernelI37fast_hadamard_transform_kernel_traitsILi32ELi9EfEEv18HadamardParamsBase
                                        ; -- End function
	.set _Z30fast_hadamard_transform_kernelI37fast_hadamard_transform_kernel_traitsILi32ELi9EfEEv18HadamardParamsBase.num_vgpr, 34
	.set _Z30fast_hadamard_transform_kernelI37fast_hadamard_transform_kernel_traitsILi32ELi9EfEEv18HadamardParamsBase.num_agpr, 0
	.set _Z30fast_hadamard_transform_kernelI37fast_hadamard_transform_kernel_traitsILi32ELi9EfEEv18HadamardParamsBase.numbered_sgpr, 16
	.set _Z30fast_hadamard_transform_kernelI37fast_hadamard_transform_kernel_traitsILi32ELi9EfEEv18HadamardParamsBase.num_named_barrier, 0
	.set _Z30fast_hadamard_transform_kernelI37fast_hadamard_transform_kernel_traitsILi32ELi9EfEEv18HadamardParamsBase.private_seg_size, 0
	.set _Z30fast_hadamard_transform_kernelI37fast_hadamard_transform_kernel_traitsILi32ELi9EfEEv18HadamardParamsBase.uses_vcc, 1
	.set _Z30fast_hadamard_transform_kernelI37fast_hadamard_transform_kernel_traitsILi32ELi9EfEEv18HadamardParamsBase.uses_flat_scratch, 0
	.set _Z30fast_hadamard_transform_kernelI37fast_hadamard_transform_kernel_traitsILi32ELi9EfEEv18HadamardParamsBase.has_dyn_sized_stack, 0
	.set _Z30fast_hadamard_transform_kernelI37fast_hadamard_transform_kernel_traitsILi32ELi9EfEEv18HadamardParamsBase.has_recursion, 0
	.set _Z30fast_hadamard_transform_kernelI37fast_hadamard_transform_kernel_traitsILi32ELi9EfEEv18HadamardParamsBase.has_indirect_call, 0
	.section	.AMDGPU.csdata,"",@progbits
; Kernel info:
; codeLenInByte = 2816
; TotalNumSgprs: 18
; NumVgprs: 34
; ScratchSize: 0
; MemoryBound: 0
; FloatMode: 240
; IeeeMode: 1
; LDSByteSize: 0 bytes/workgroup (compile time only)
; SGPRBlocks: 0
; VGPRBlocks: 4
; NumSGPRsForWavesPerEU: 18
; NumVGPRsForWavesPerEU: 34
; Occupancy: 16
; WaveLimiterHint : 0
; COMPUTE_PGM_RSRC2:SCRATCH_EN: 0
; COMPUTE_PGM_RSRC2:USER_SGPR: 6
; COMPUTE_PGM_RSRC2:TRAP_HANDLER: 0
; COMPUTE_PGM_RSRC2:TGID_X_EN: 1
; COMPUTE_PGM_RSRC2:TGID_Y_EN: 0
; COMPUTE_PGM_RSRC2:TGID_Z_EN: 0
; COMPUTE_PGM_RSRC2:TIDIG_COMP_CNT: 0
	.section	.text._Z30fast_hadamard_transform_kernelI37fast_hadamard_transform_kernel_traitsILi128ELi10EfEEv18HadamardParamsBase,"axG",@progbits,_Z30fast_hadamard_transform_kernelI37fast_hadamard_transform_kernel_traitsILi128ELi10EfEEv18HadamardParamsBase,comdat
	.protected	_Z30fast_hadamard_transform_kernelI37fast_hadamard_transform_kernel_traitsILi128ELi10EfEEv18HadamardParamsBase ; -- Begin function _Z30fast_hadamard_transform_kernelI37fast_hadamard_transform_kernel_traitsILi128ELi10EfEEv18HadamardParamsBase
	.globl	_Z30fast_hadamard_transform_kernelI37fast_hadamard_transform_kernel_traitsILi128ELi10EfEEv18HadamardParamsBase
	.p2align	8
	.type	_Z30fast_hadamard_transform_kernelI37fast_hadamard_transform_kernel_traitsILi128ELi10EfEEv18HadamardParamsBase,@function
_Z30fast_hadamard_transform_kernelI37fast_hadamard_transform_kernel_traitsILi128ELi10EfEEv18HadamardParamsBase: ; @_Z30fast_hadamard_transform_kernelI37fast_hadamard_transform_kernel_traitsILi128ELi10EfEEv18HadamardParamsBase
; %bb.0:
	s_clause 0x3
	s_load_dwordx4 s[12:15], s[4:5], 0x10
	s_load_dword s0, s[4:5], 0x4
	s_load_dwordx4 s[8:11], s[4:5], 0x28
	s_load_dword s1, s[4:5], 0x44
	s_ashr_i32 s16, s6, 31
	v_lshlrev_b32_e32 v2, 2, v0
	v_mov_b32_e32 v1, 0
	v_mov_b32_e32 v5, 0
	;; [unrolled: 1-line block ×4, first 2 shown]
	v_lshlrev_b32_e32 v9, 4, v0
	v_mov_b32_e32 v8, 0
	s_waitcnt lgkmcnt(0)
	s_mul_hi_u32 s2, s12, s6
	s_mul_i32 s3, s12, s16
	s_mul_i32 s7, s13, s6
	s_add_i32 s3, s2, s3
	s_mul_i32 s2, s12, s6
	s_add_i32 s3, s3, s7
	v_cmp_gt_u32_e32 vcc_lo, s0, v2
	s_lshl_b64 s[2:3], s[2:3], 2
	s_add_u32 s2, s8, s2
	s_addc_u32 s3, s9, s3
	s_and_saveexec_b32 s7, vcc_lo
	s_cbranch_execz .LBB7_2
; %bb.1:
	global_load_dwordx4 v[5:8], v9, s[2:3]
.LBB7_2:
	s_or_b32 exec_lo, exec_lo, s7
	s_and_b32 s1, 0xffff, s1
	v_mov_b32_e32 v2, 0
	v_add_nc_u32_e32 v4, s1, v0
	v_mov_b32_e32 v3, 0
	v_lshlrev_b32_e32 v11, 2, v4
	v_lshlrev_b32_e32 v10, 4, v4
	v_mov_b32_e32 v4, 0
	v_cmp_gt_u32_e64 s0, s0, v11
	s_and_saveexec_b32 s1, s0
	s_cbranch_execz .LBB7_4
; %bb.3:
	global_load_dwordx4 v[1:4], v10, s[2:3]
.LBB7_4:
	s_or_b32 exec_lo, exec_lo, s1
	v_mbcnt_lo_u32_b32 v11, -1, 0
	s_waitcnt vmcnt(0)
	v_add_f32_e32 v12, v5, v6
	v_sub_f32_e32 v5, v5, v6
	v_add_f32_e32 v6, v1, v2
	v_sub_f32_e32 v1, v1, v2
	v_xor_b32_e32 v13, 1, v11
	v_add_f32_e32 v2, v7, v8
	v_sub_f32_e32 v7, v7, v8
	v_add_f32_e32 v8, v3, v4
	v_sub_f32_e32 v3, v3, v4
	v_cmp_gt_i32_e64 s1, 32, v13
	v_add_f32_e32 v15, v12, v2
	v_and_b32_e32 v4, 1, v0
	v_sub_f32_e32 v2, v12, v2
	v_add_f32_e32 v12, v6, v8
	v_cndmask_b32_e64 v13, v11, v13, s1
	v_sub_f32_e32 v6, v6, v8
	v_add_f32_e32 v8, v5, v7
	v_sub_f32_e32 v5, v5, v7
	v_add_f32_e32 v7, v1, v3
	v_lshlrev_b32_e32 v13, 2, v13
	v_sub_f32_e32 v1, v1, v3
	v_xor_b32_e32 v3, 2, v11
	v_cmp_eq_u32_e64 s1, 0, v4
	v_and_b32_e32 v14, 2, v0
	ds_bpermute_b32 v16, v13, v15
	ds_bpermute_b32 v17, v13, v8
	;; [unrolled: 1-line block ×5, first 2 shown]
	v_cmp_gt_i32_e64 s2, 32, v3
	ds_bpermute_b32 v21, v13, v7
	v_cndmask_b32_e64 v15, -v15, v15, s1
	v_cndmask_b32_e64 v8, -v8, v8, s1
	;; [unrolled: 1-line block ×3, first 2 shown]
	v_cndmask_b32_e64 v3, v11, v3, s2
	v_cndmask_b32_e64 v5, -v5, v5, s1
	v_cndmask_b32_e64 v12, -v12, v12, s1
	v_cndmask_b32_e64 v7, -v7, v7, s1
	v_cmp_eq_u32_e64 s2, 0, v14
	v_lshlrev_b32_e32 v22, 2, v3
	v_xor_b32_e32 v4, 4, v11
	s_waitcnt lgkmcnt(0)
	s_barrier
	buffer_gl0_inv
	v_add_f32_e32 v3, v15, v16
	ds_bpermute_b32 v15, v13, v6
	ds_bpermute_b32 v16, v13, v1
	v_add_f32_e32 v8, v8, v17
	v_add_f32_e32 v2, v2, v18
	;; [unrolled: 1-line block ×4, first 2 shown]
	v_cndmask_b32_e64 v6, -v6, v6, s1
	ds_bpermute_b32 v23, v22, v3
	v_cndmask_b32_e64 v1, -v1, v1, s1
	v_add_f32_e32 v7, v7, v21
	ds_bpermute_b32 v14, v22, v8
	ds_bpermute_b32 v17, v22, v2
	ds_bpermute_b32 v18, v22, v5
	ds_bpermute_b32 v19, v22, v12
	ds_bpermute_b32 v20, v22, v7
	v_cmp_gt_i32_e64 s3, 32, v4
	v_cndmask_b32_e64 v3, -v3, v3, s2
	v_cndmask_b32_e64 v8, -v8, v8, s2
	;; [unrolled: 1-line block ×4, first 2 shown]
	s_waitcnt lgkmcnt(7)
	v_add_f32_e32 v6, v6, v15
	s_waitcnt lgkmcnt(6)
	v_add_f32_e32 v1, v1, v16
	v_cndmask_b32_e64 v4, v11, v4, s3
	v_cndmask_b32_e64 v12, -v12, v12, s2
	v_cndmask_b32_e64 v7, -v7, v7, s2
	ds_bpermute_b32 v15, v22, v6
	ds_bpermute_b32 v16, v22, v1
	s_waitcnt lgkmcnt(7)
	v_add_f32_e32 v3, v3, v23
	v_lshlrev_b32_e32 v4, 2, v4
	v_cndmask_b32_e64 v6, -v6, v6, s2
	s_waitcnt lgkmcnt(6)
	v_add_f32_e32 v8, v8, v14
	s_waitcnt lgkmcnt(5)
	v_add_f32_e32 v2, v2, v17
	;; [unrolled: 2-line block ×4, first 2 shown]
	ds_bpermute_b32 v21, v4, v3
	s_waitcnt lgkmcnt(3)
	v_add_f32_e32 v7, v7, v20
	v_cndmask_b32_e64 v1, -v1, v1, s2
	ds_bpermute_b32 v17, v4, v8
	ds_bpermute_b32 v18, v4, v2
	;; [unrolled: 1-line block ×4, first 2 shown]
	v_and_b32_e32 v14, 4, v0
	v_xor_b32_e32 v23, 8, v11
	s_waitcnt lgkmcnt(6)
	v_add_f32_e32 v6, v6, v15
	s_waitcnt lgkmcnt(5)
	v_add_f32_e32 v1, v1, v16
	v_cmp_eq_u32_e64 s3, 0, v14
	v_cmp_gt_i32_e64 s7, 32, v23
	ds_bpermute_b32 v15, v4, v7
	ds_bpermute_b32 v16, v4, v6
	;; [unrolled: 1-line block ×3, first 2 shown]
	v_cndmask_b32_e64 v3, -v3, v3, s3
	v_cndmask_b32_e64 v14, v11, v23, s7
	v_cndmask_b32_e64 v8, -v8, v8, s3
	v_cndmask_b32_e64 v2, -v2, v2, s3
	;; [unrolled: 1-line block ×4, first 2 shown]
	s_waitcnt lgkmcnt(7)
	v_add_f32_e32 v3, v3, v21
	v_lshlrev_b32_e32 v14, 2, v14
	s_waitcnt lgkmcnt(6)
	v_add_f32_e32 v8, v8, v17
	s_waitcnt lgkmcnt(5)
	v_add_f32_e32 v2, v2, v18
	;; [unrolled: 2-line block ×4, first 2 shown]
	v_and_b32_e32 v17, 8, v0
	ds_bpermute_b32 v21, v14, v3
	v_cndmask_b32_e64 v7, -v7, v7, s3
	v_cndmask_b32_e64 v6, -v6, v6, s3
	v_cndmask_b32_e64 v1, -v1, v1, s3
	ds_bpermute_b32 v18, v14, v8
	ds_bpermute_b32 v19, v14, v2
	v_cmp_eq_u32_e64 s3, 0, v17
	ds_bpermute_b32 v17, v14, v5
	ds_bpermute_b32 v20, v14, v12
	s_waitcnt lgkmcnt(7)
	v_add_f32_e32 v7, v7, v15
	s_waitcnt lgkmcnt(6)
	v_add_f32_e32 v6, v6, v16
	;; [unrolled: 2-line block ×3, first 2 shown]
	v_cndmask_b32_e64 v4, -v8, v8, s3
	v_xor_b32_e32 v8, 16, v11
	ds_bpermute_b32 v15, v14, v7
	ds_bpermute_b32 v16, v14, v6
	;; [unrolled: 1-line block ×3, first 2 shown]
	v_cndmask_b32_e64 v3, -v3, v3, s3
	v_cmp_gt_i32_e64 s7, 32, v8
	v_cndmask_b32_e64 v2, -v2, v2, s3
	v_cndmask_b32_e64 v5, -v5, v5, s3
	;; [unrolled: 1-line block ×3, first 2 shown]
	s_waitcnt lgkmcnt(7)
	v_add_f32_e32 v3, v3, v21
	v_cndmask_b32_e64 v8, v11, v8, s7
	v_cndmask_b32_e64 v11, -v12, v12, s3
	s_waitcnt lgkmcnt(6)
	v_add_f32_e32 v4, v4, v18
	s_waitcnt lgkmcnt(5)
	v_add_f32_e32 v2, v2, v19
	;; [unrolled: 2-line block ×3, first 2 shown]
	v_lshlrev_b32_e32 v8, 2, v8
	s_waitcnt lgkmcnt(3)
	v_add_f32_e32 v11, v11, v20
	v_cndmask_b32_e64 v6, -v6, v6, s3
	v_cndmask_b32_e64 v1, -v1, v1, s3
	v_and_b32_e32 v21, 16, v0
	ds_bpermute_b32 v12, v8, v3
	ds_bpermute_b32 v17, v8, v4
	;; [unrolled: 1-line block ×5, first 2 shown]
	s_waitcnt lgkmcnt(7)
	v_add_f32_e32 v7, v7, v15
	s_waitcnt lgkmcnt(6)
	v_add_f32_e32 v6, v6, v16
	;; [unrolled: 2-line block ×3, first 2 shown]
	v_cmp_eq_u32_e64 s3, 0, v21
	ds_bpermute_b32 v15, v8, v7
	ds_bpermute_b32 v16, v8, v6
	;; [unrolled: 1-line block ×3, first 2 shown]
	v_cndmask_b32_e64 v1, -v3, v3, s3
	v_cndmask_b32_e64 v3, -v4, v4, s3
	;; [unrolled: 1-line block ×7, first 2 shown]
	s_waitcnt lgkmcnt(7)
	v_add_f32_e32 v1, v1, v12
	s_waitcnt lgkmcnt(6)
	v_add_f32_e32 v2, v3, v17
	;; [unrolled: 2-line block ×5, first 2 shown]
	v_lshrrev_b32_e32 v11, 5, v0
	v_and_b32_e32 v12, 3, v0
	v_lshrrev_b32_e32 v17, 2, v0
	v_cndmask_b32_e64 v18, -v6, v6, s3
	s_mul_hi_u32 s3, s14, s6
	v_xor_b32_e32 v0, v11, v0
	s_waitcnt lgkmcnt(2)
	v_add_f32_e32 v6, v7, v15
	v_lshl_or_b32 v11, v12, 5, v17
	s_waitcnt lgkmcnt(0)
	v_add_f32_e32 v8, v14, v8
	v_add_f32_e32 v7, v18, v16
	v_lshl_add_u32 v14, v0, 4, 0
	v_xor_b32_e32 v0, v11, v12
	ds_write_b128 v14, v[1:4]
	ds_write_b128 v14, v[5:8] offset:2048
	v_lshl_add_u32 v11, v0, 4, 0
	s_waitcnt lgkmcnt(0)
	s_barrier
	buffer_gl0_inv
	ds_read_b128 v[0:3], v11
	ds_read_b128 v[4:7], v11 offset:2048
	s_waitcnt lgkmcnt(0)
	s_barrier
	buffer_gl0_inv
	ds_bpermute_b32 v8, v13, v0
	ds_bpermute_b32 v12, v13, v1
	;; [unrolled: 1-line block ×8, first 2 shown]
	v_cndmask_b32_e64 v0, -v0, v0, s1
	v_cndmask_b32_e64 v1, -v1, v1, s1
	;; [unrolled: 1-line block ×8, first 2 shown]
	s_load_dword s1, s[4:5], 0x20
	s_waitcnt lgkmcnt(0)
	v_add_f32_e32 v0, v0, v8
	v_add_f32_e32 v1, v1, v12
	;; [unrolled: 1-line block ×8, first 2 shown]
	ds_bpermute_b32 v8, v22, v0
	ds_bpermute_b32 v12, v22, v1
	;; [unrolled: 1-line block ×8, first 2 shown]
	v_cndmask_b32_e64 v0, -v0, v0, s2
	v_cndmask_b32_e64 v1, -v1, v1, s2
	;; [unrolled: 1-line block ×8, first 2 shown]
	s_mul_i32 s2, s14, s16
	s_add_i32 s2, s3, s2
	s_mul_i32 s3, s15, s6
	s_waitcnt lgkmcnt(7)
	v_add_f32_e32 v0, v0, v8
	s_waitcnt lgkmcnt(6)
	v_add_f32_e32 v1, v1, v12
	;; [unrolled: 2-line block ×8, first 2 shown]
	ds_write_b128 v11, v[0:3]
	ds_write_b128 v11, v[4:7] offset:2048
	s_waitcnt lgkmcnt(0)
	s_barrier
	buffer_gl0_inv
	ds_read_b128 v[0:3], v14
	ds_read_b128 v[4:7], v14 offset:2048
	s_add_i32 s3, s2, s3
	s_mul_i32 s2, s14, s6
	s_lshl_b64 s[2:3], s[2:3], 2
	s_add_u32 s2, s10, s2
	s_addc_u32 s3, s11, s3
	s_and_saveexec_b32 s4, vcc_lo
	s_cbranch_execnz .LBB7_7
; %bb.5:
	s_or_b32 exec_lo, exec_lo, s4
	s_and_saveexec_b32 s4, s0
	s_cbranch_execnz .LBB7_8
.LBB7_6:
	s_endpgm
.LBB7_7:
	s_waitcnt lgkmcnt(0)
	v_add_f32_e32 v8, v3, v7
	v_add_f32_e32 v11, v2, v6
	;; [unrolled: 1-line block ×4, first 2 shown]
	v_mul_f32_e32 v14, s1, v8
	v_mul_f32_e32 v13, s1, v11
	;; [unrolled: 1-line block ×4, first 2 shown]
	global_store_dwordx4 v9, v[11:14], s[2:3]
	s_or_b32 exec_lo, exec_lo, s4
	s_and_saveexec_b32 s4, s0
	s_cbranch_execz .LBB7_6
.LBB7_8:
	s_waitcnt lgkmcnt(0)
	v_sub_f32_e32 v0, v0, v4
	v_sub_f32_e32 v1, v1, v5
	;; [unrolled: 1-line block ×4, first 2 shown]
	v_mul_f32_e32 v0, s1, v0
	v_mul_f32_e32 v1, s1, v1
	;; [unrolled: 1-line block ×4, first 2 shown]
	global_store_dwordx4 v10, v[0:3], s[2:3]
	s_endpgm
	.section	.rodata,"a",@progbits
	.p2align	6, 0x0
	.amdhsa_kernel _Z30fast_hadamard_transform_kernelI37fast_hadamard_transform_kernel_traitsILi128ELi10EfEEv18HadamardParamsBase
		.amdhsa_group_segment_fixed_size 0
		.amdhsa_private_segment_fixed_size 0
		.amdhsa_kernarg_size 312
		.amdhsa_user_sgpr_count 6
		.amdhsa_user_sgpr_private_segment_buffer 1
		.amdhsa_user_sgpr_dispatch_ptr 0
		.amdhsa_user_sgpr_queue_ptr 0
		.amdhsa_user_sgpr_kernarg_segment_ptr 1
		.amdhsa_user_sgpr_dispatch_id 0
		.amdhsa_user_sgpr_flat_scratch_init 0
		.amdhsa_user_sgpr_private_segment_size 0
		.amdhsa_wavefront_size32 1
		.amdhsa_uses_dynamic_stack 0
		.amdhsa_system_sgpr_private_segment_wavefront_offset 0
		.amdhsa_system_sgpr_workgroup_id_x 1
		.amdhsa_system_sgpr_workgroup_id_y 0
		.amdhsa_system_sgpr_workgroup_id_z 0
		.amdhsa_system_sgpr_workgroup_info 0
		.amdhsa_system_vgpr_workitem_id 0
		.amdhsa_next_free_vgpr 24
		.amdhsa_next_free_sgpr 17
		.amdhsa_reserve_vcc 1
		.amdhsa_reserve_flat_scratch 0
		.amdhsa_float_round_mode_32 0
		.amdhsa_float_round_mode_16_64 0
		.amdhsa_float_denorm_mode_32 3
		.amdhsa_float_denorm_mode_16_64 3
		.amdhsa_dx10_clamp 1
		.amdhsa_ieee_mode 1
		.amdhsa_fp16_overflow 0
		.amdhsa_workgroup_processor_mode 1
		.amdhsa_memory_ordered 1
		.amdhsa_forward_progress 1
		.amdhsa_shared_vgpr_count 0
		.amdhsa_exception_fp_ieee_invalid_op 0
		.amdhsa_exception_fp_denorm_src 0
		.amdhsa_exception_fp_ieee_div_zero 0
		.amdhsa_exception_fp_ieee_overflow 0
		.amdhsa_exception_fp_ieee_underflow 0
		.amdhsa_exception_fp_ieee_inexact 0
		.amdhsa_exception_int_div_zero 0
	.end_amdhsa_kernel
	.section	.text._Z30fast_hadamard_transform_kernelI37fast_hadamard_transform_kernel_traitsILi128ELi10EfEEv18HadamardParamsBase,"axG",@progbits,_Z30fast_hadamard_transform_kernelI37fast_hadamard_transform_kernel_traitsILi128ELi10EfEEv18HadamardParamsBase,comdat
.Lfunc_end7:
	.size	_Z30fast_hadamard_transform_kernelI37fast_hadamard_transform_kernel_traitsILi128ELi10EfEEv18HadamardParamsBase, .Lfunc_end7-_Z30fast_hadamard_transform_kernelI37fast_hadamard_transform_kernel_traitsILi128ELi10EfEEv18HadamardParamsBase
                                        ; -- End function
	.set _Z30fast_hadamard_transform_kernelI37fast_hadamard_transform_kernel_traitsILi128ELi10EfEEv18HadamardParamsBase.num_vgpr, 24
	.set _Z30fast_hadamard_transform_kernelI37fast_hadamard_transform_kernel_traitsILi128ELi10EfEEv18HadamardParamsBase.num_agpr, 0
	.set _Z30fast_hadamard_transform_kernelI37fast_hadamard_transform_kernel_traitsILi128ELi10EfEEv18HadamardParamsBase.numbered_sgpr, 17
	.set _Z30fast_hadamard_transform_kernelI37fast_hadamard_transform_kernel_traitsILi128ELi10EfEEv18HadamardParamsBase.num_named_barrier, 0
	.set _Z30fast_hadamard_transform_kernelI37fast_hadamard_transform_kernel_traitsILi128ELi10EfEEv18HadamardParamsBase.private_seg_size, 0
	.set _Z30fast_hadamard_transform_kernelI37fast_hadamard_transform_kernel_traitsILi128ELi10EfEEv18HadamardParamsBase.uses_vcc, 1
	.set _Z30fast_hadamard_transform_kernelI37fast_hadamard_transform_kernel_traitsILi128ELi10EfEEv18HadamardParamsBase.uses_flat_scratch, 0
	.set _Z30fast_hadamard_transform_kernelI37fast_hadamard_transform_kernel_traitsILi128ELi10EfEEv18HadamardParamsBase.has_dyn_sized_stack, 0
	.set _Z30fast_hadamard_transform_kernelI37fast_hadamard_transform_kernel_traitsILi128ELi10EfEEv18HadamardParamsBase.has_recursion, 0
	.set _Z30fast_hadamard_transform_kernelI37fast_hadamard_transform_kernel_traitsILi128ELi10EfEEv18HadamardParamsBase.has_indirect_call, 0
	.section	.AMDGPU.csdata,"",@progbits
; Kernel info:
; codeLenInByte = 2080
; TotalNumSgprs: 19
; NumVgprs: 24
; ScratchSize: 0
; MemoryBound: 0
; FloatMode: 240
; IeeeMode: 1
; LDSByteSize: 0 bytes/workgroup (compile time only)
; SGPRBlocks: 0
; VGPRBlocks: 2
; NumSGPRsForWavesPerEU: 19
; NumVGPRsForWavesPerEU: 24
; Occupancy: 16
; WaveLimiterHint : 0
; COMPUTE_PGM_RSRC2:SCRATCH_EN: 0
; COMPUTE_PGM_RSRC2:USER_SGPR: 6
; COMPUTE_PGM_RSRC2:TRAP_HANDLER: 0
; COMPUTE_PGM_RSRC2:TGID_X_EN: 1
; COMPUTE_PGM_RSRC2:TGID_Y_EN: 0
; COMPUTE_PGM_RSRC2:TGID_Z_EN: 0
; COMPUTE_PGM_RSRC2:TIDIG_COMP_CNT: 0
	.section	.text._Z30fast_hadamard_transform_kernelI37fast_hadamard_transform_kernel_traitsILi256ELi11EfEEv18HadamardParamsBase,"axG",@progbits,_Z30fast_hadamard_transform_kernelI37fast_hadamard_transform_kernel_traitsILi256ELi11EfEEv18HadamardParamsBase,comdat
	.protected	_Z30fast_hadamard_transform_kernelI37fast_hadamard_transform_kernel_traitsILi256ELi11EfEEv18HadamardParamsBase ; -- Begin function _Z30fast_hadamard_transform_kernelI37fast_hadamard_transform_kernel_traitsILi256ELi11EfEEv18HadamardParamsBase
	.globl	_Z30fast_hadamard_transform_kernelI37fast_hadamard_transform_kernel_traitsILi256ELi11EfEEv18HadamardParamsBase
	.p2align	8
	.type	_Z30fast_hadamard_transform_kernelI37fast_hadamard_transform_kernel_traitsILi256ELi11EfEEv18HadamardParamsBase,@function
_Z30fast_hadamard_transform_kernelI37fast_hadamard_transform_kernel_traitsILi256ELi11EfEEv18HadamardParamsBase: ; @_Z30fast_hadamard_transform_kernelI37fast_hadamard_transform_kernel_traitsILi256ELi11EfEEv18HadamardParamsBase
; %bb.0:
	s_clause 0x3
	s_load_dwordx4 s[12:15], s[4:5], 0x10
	s_load_dword s0, s[4:5], 0x4
	s_load_dwordx4 s[8:11], s[4:5], 0x28
	s_load_dword s1, s[4:5], 0x44
	s_ashr_i32 s16, s6, 31
	v_lshlrev_b32_e32 v2, 2, v0
	v_mov_b32_e32 v1, 0
	v_mov_b32_e32 v5, 0
	;; [unrolled: 1-line block ×4, first 2 shown]
	v_lshlrev_b32_e32 v9, 4, v0
	v_mov_b32_e32 v8, 0
	s_waitcnt lgkmcnt(0)
	s_mul_hi_u32 s2, s12, s6
	s_mul_i32 s3, s12, s16
	s_mul_i32 s7, s13, s6
	s_add_i32 s3, s2, s3
	s_mul_i32 s2, s12, s6
	s_add_i32 s3, s3, s7
	v_cmp_gt_u32_e32 vcc_lo, s0, v2
	s_lshl_b64 s[2:3], s[2:3], 2
	s_add_u32 s2, s8, s2
	s_addc_u32 s3, s9, s3
	s_and_saveexec_b32 s7, vcc_lo
	s_cbranch_execz .LBB8_2
; %bb.1:
	global_load_dwordx4 v[5:8], v9, s[2:3]
.LBB8_2:
	s_or_b32 exec_lo, exec_lo, s7
	s_and_b32 s1, 0xffff, s1
	v_mov_b32_e32 v2, 0
	v_add_nc_u32_e32 v4, s1, v0
	v_mov_b32_e32 v3, 0
	v_lshlrev_b32_e32 v11, 2, v4
	v_lshlrev_b32_e32 v10, 4, v4
	v_mov_b32_e32 v4, 0
	v_cmp_gt_u32_e64 s0, s0, v11
	s_and_saveexec_b32 s1, s0
	s_cbranch_execz .LBB8_4
; %bb.3:
	global_load_dwordx4 v[1:4], v10, s[2:3]
.LBB8_4:
	s_or_b32 exec_lo, exec_lo, s1
	v_mbcnt_lo_u32_b32 v11, -1, 0
	s_waitcnt vmcnt(0)
	v_add_f32_e32 v12, v5, v6
	v_sub_f32_e32 v5, v5, v6
	v_add_f32_e32 v6, v1, v2
	v_sub_f32_e32 v1, v1, v2
	v_xor_b32_e32 v13, 1, v11
	v_add_f32_e32 v2, v7, v8
	v_sub_f32_e32 v7, v7, v8
	v_add_f32_e32 v8, v3, v4
	v_sub_f32_e32 v3, v3, v4
	v_cmp_gt_i32_e64 s1, 32, v13
	v_add_f32_e32 v15, v12, v2
	v_and_b32_e32 v4, 1, v0
	v_sub_f32_e32 v2, v12, v2
	v_add_f32_e32 v12, v6, v8
	v_cndmask_b32_e64 v13, v11, v13, s1
	v_sub_f32_e32 v6, v6, v8
	v_add_f32_e32 v8, v5, v7
	v_sub_f32_e32 v5, v5, v7
	v_add_f32_e32 v7, v1, v3
	v_lshlrev_b32_e32 v13, 2, v13
	v_sub_f32_e32 v1, v1, v3
	v_xor_b32_e32 v3, 2, v11
	v_cmp_eq_u32_e64 s1, 0, v4
	v_and_b32_e32 v14, 2, v0
	ds_bpermute_b32 v16, v13, v15
	ds_bpermute_b32 v17, v13, v8
	;; [unrolled: 1-line block ×5, first 2 shown]
	v_cmp_gt_i32_e64 s2, 32, v3
	ds_bpermute_b32 v21, v13, v7
	v_cndmask_b32_e64 v15, -v15, v15, s1
	v_cndmask_b32_e64 v8, -v8, v8, s1
	;; [unrolled: 1-line block ×3, first 2 shown]
	v_cndmask_b32_e64 v3, v11, v3, s2
	v_cndmask_b32_e64 v5, -v5, v5, s1
	v_cndmask_b32_e64 v12, -v12, v12, s1
	v_xor_b32_e32 v4, 4, v11
	v_cndmask_b32_e64 v7, -v7, v7, s1
	v_lshlrev_b32_e32 v22, 2, v3
	v_cmp_eq_u32_e64 s2, 0, v14
	s_waitcnt lgkmcnt(0)
	v_cmp_gt_i32_e64 s3, 32, v4
	s_barrier
	v_add_f32_e32 v3, v15, v16
	ds_bpermute_b32 v15, v13, v6
	ds_bpermute_b32 v16, v13, v1
	v_add_f32_e32 v8, v8, v17
	v_add_f32_e32 v2, v2, v18
	ds_bpermute_b32 v23, v22, v3
	v_add_f32_e32 v5, v5, v19
	v_add_f32_e32 v12, v12, v20
	v_cndmask_b32_e64 v6, -v6, v6, s1
	v_cndmask_b32_e64 v1, -v1, v1, s1
	v_add_f32_e32 v7, v7, v21
	ds_bpermute_b32 v14, v22, v8
	ds_bpermute_b32 v17, v22, v2
	;; [unrolled: 1-line block ×5, first 2 shown]
	v_cndmask_b32_e64 v4, v11, v4, s3
	v_cndmask_b32_e64 v3, -v3, v3, s2
	v_cndmask_b32_e64 v8, -v8, v8, s2
	;; [unrolled: 1-line block ×4, first 2 shown]
	s_waitcnt lgkmcnt(7)
	v_add_f32_e32 v6, v6, v15
	s_waitcnt lgkmcnt(6)
	v_add_f32_e32 v1, v1, v16
	v_lshlrev_b32_e32 v15, 2, v4
	v_cndmask_b32_e64 v12, -v12, v12, s2
	s_waitcnt lgkmcnt(5)
	v_add_f32_e32 v3, v3, v23
	ds_bpermute_b32 v4, v22, v6
	ds_bpermute_b32 v16, v22, v1
	v_cndmask_b32_e64 v7, -v7, v7, s2
	v_cndmask_b32_e64 v6, -v6, v6, s2
	ds_bpermute_b32 v21, v15, v3
	s_waitcnt lgkmcnt(7)
	v_add_f32_e32 v8, v8, v14
	s_waitcnt lgkmcnt(6)
	v_add_f32_e32 v2, v2, v17
	;; [unrolled: 2-line block ×4, first 2 shown]
	v_and_b32_e32 v14, 4, v0
	s_waitcnt lgkmcnt(3)
	v_add_f32_e32 v7, v7, v20
	v_cndmask_b32_e64 v1, -v1, v1, s2
	ds_bpermute_b32 v17, v15, v8
	ds_bpermute_b32 v18, v15, v2
	;; [unrolled: 1-line block ×4, first 2 shown]
	v_cmp_eq_u32_e64 s3, 0, v14
	v_xor_b32_e32 v23, 8, v11
	ds_bpermute_b32 v14, v15, v7
	s_waitcnt lgkmcnt(0)
	buffer_gl0_inv
	v_add_f32_e32 v4, v6, v4
	v_cndmask_b32_e64 v3, -v3, v3, s3
	v_add_f32_e32 v1, v1, v16
	v_cmp_gt_i32_e64 s7, 32, v23
	v_cndmask_b32_e64 v8, -v8, v8, s3
	ds_bpermute_b32 v16, v15, v4
	v_add_f32_e32 v3, v3, v21
	ds_bpermute_b32 v21, v15, v1
	v_cndmask_b32_e64 v6, v11, v23, s7
	v_cndmask_b32_e64 v2, -v2, v2, s3
	v_cndmask_b32_e64 v5, -v5, v5, s3
	;; [unrolled: 1-line block ×3, first 2 shown]
	v_add_f32_e32 v8, v8, v17
	v_lshlrev_b32_e32 v6, 2, v6
	v_add_f32_e32 v2, v2, v18
	v_add_f32_e32 v5, v5, v19
	;; [unrolled: 1-line block ×3, first 2 shown]
	v_and_b32_e32 v17, 8, v0
	ds_bpermute_b32 v23, v6, v3
	v_cndmask_b32_e64 v7, -v7, v7, s3
	v_cndmask_b32_e64 v4, -v4, v4, s3
	;; [unrolled: 1-line block ×3, first 2 shown]
	ds_bpermute_b32 v18, v6, v8
	ds_bpermute_b32 v19, v6, v2
	v_cmp_eq_u32_e64 s7, 0, v17
	ds_bpermute_b32 v17, v6, v5
	ds_bpermute_b32 v20, v6, v12
	v_add_f32_e32 v7, v7, v14
	s_waitcnt lgkmcnt(6)
	v_add_f32_e32 v4, v4, v16
	s_waitcnt lgkmcnt(5)
	v_add_f32_e32 v1, v1, v21
	v_xor_b32_e32 v14, 16, v11
	v_cndmask_b32_e64 v3, -v3, v3, s7
	ds_bpermute_b32 v16, v6, v7
	ds_bpermute_b32 v21, v6, v4
	;; [unrolled: 1-line block ×3, first 2 shown]
	v_cmp_gt_i32_e64 s8, 32, v14
	v_cndmask_b32_e64 v8, -v8, v8, s7
	v_cndmask_b32_e64 v2, -v2, v2, s7
	;; [unrolled: 1-line block ×4, first 2 shown]
	v_cndmask_b32_e64 v11, v11, v14, s8
	s_waitcnt lgkmcnt(7)
	v_add_f32_e32 v3, v3, v23
	s_waitcnt lgkmcnt(6)
	v_add_f32_e32 v8, v8, v18
	;; [unrolled: 2-line block ×3, first 2 shown]
	v_cndmask_b32_e64 v7, -v7, v7, s7
	v_lshlrev_b32_e32 v11, 2, v11
	s_waitcnt lgkmcnt(4)
	v_add_f32_e32 v5, v5, v17
	s_waitcnt lgkmcnt(3)
	v_add_f32_e32 v12, v12, v20
	v_cndmask_b32_e64 v4, -v4, v4, s7
	v_cndmask_b32_e64 v1, -v1, v1, s7
	ds_bpermute_b32 v14, v11, v3
	ds_bpermute_b32 v17, v11, v8
	;; [unrolled: 1-line block ×5, first 2 shown]
	v_and_b32_e32 v23, 16, v0
	s_waitcnt lgkmcnt(7)
	v_add_f32_e32 v7, v7, v16
	s_waitcnt lgkmcnt(6)
	v_add_f32_e32 v16, v4, v21
	s_waitcnt lgkmcnt(5)
	v_add_f32_e32 v6, v1, v6
	v_cmp_eq_u32_e64 s7, 0, v23
	ds_bpermute_b32 v21, v11, v7
	ds_bpermute_b32 v23, v11, v16
	;; [unrolled: 1-line block ×3, first 2 shown]
	v_cndmask_b32_e64 v1, -v3, v3, s7
	v_cndmask_b32_e64 v3, -v8, v8, s7
	;; [unrolled: 1-line block ×5, first 2 shown]
	s_waitcnt lgkmcnt(7)
	v_add_f32_e32 v1, v1, v14
	s_waitcnt lgkmcnt(6)
	v_add_f32_e32 v2, v3, v17
	;; [unrolled: 2-line block ×5, first 2 shown]
	v_lshrrev_b32_e32 v8, 5, v0
	v_and_b32_e32 v12, 7, v0
	v_lshrrev_b32_e32 v14, 3, v0
	v_cndmask_b32_e64 v17, -v6, v6, s7
	v_cndmask_b32_e64 v7, -v7, v7, s7
	v_xor_b32_e32 v0, v8, v0
	v_cndmask_b32_e64 v16, -v16, v16, s7
	v_lshl_or_b32 v14, v12, 5, v14
	s_waitcnt lgkmcnt(0)
	v_add_f32_e32 v8, v17, v11
	v_add_f32_e32 v6, v7, v21
	v_lshl_add_u32 v11, v0, 4, 0
	v_add_f32_e32 v7, v16, v23
	v_xor_b32_e32 v0, v14, v12
	ds_write_b128 v11, v[1:4]
	ds_write_b128 v11, v[5:8] offset:4096
	v_lshl_add_u32 v12, v0, 4, 0
	s_waitcnt lgkmcnt(0)
	s_barrier
	buffer_gl0_inv
	ds_read_b128 v[0:3], v12
	ds_read_b128 v[4:7], v12 offset:4096
	s_waitcnt lgkmcnt(0)
	s_barrier
	buffer_gl0_inv
	ds_bpermute_b32 v8, v13, v0
	ds_bpermute_b32 v14, v13, v1
	;; [unrolled: 1-line block ×8, first 2 shown]
	v_cndmask_b32_e64 v0, -v0, v0, s1
	v_cndmask_b32_e64 v1, -v1, v1, s1
	;; [unrolled: 1-line block ×8, first 2 shown]
	s_load_dword s1, s[4:5], 0x20
	s_waitcnt lgkmcnt(0)
	v_add_f32_e32 v0, v0, v8
	v_add_f32_e32 v1, v1, v14
	;; [unrolled: 1-line block ×8, first 2 shown]
	ds_bpermute_b32 v8, v22, v0
	ds_bpermute_b32 v14, v22, v1
	ds_bpermute_b32 v16, v22, v2
	ds_bpermute_b32 v13, v22, v3
	ds_bpermute_b32 v17, v22, v4
	ds_bpermute_b32 v18, v22, v5
	ds_bpermute_b32 v19, v22, v6
	ds_bpermute_b32 v20, v22, v7
	v_cndmask_b32_e64 v0, -v0, v0, s2
	v_cndmask_b32_e64 v1, -v1, v1, s2
	v_cndmask_b32_e64 v2, -v2, v2, s2
	v_cndmask_b32_e64 v3, -v3, v3, s2
	v_cndmask_b32_e64 v4, -v4, v4, s2
	v_cndmask_b32_e64 v5, -v5, v5, s2
	v_cndmask_b32_e64 v6, -v6, v6, s2
	v_cndmask_b32_e64 v7, -v7, v7, s2
	s_mul_i32 s2, s14, s16
	s_waitcnt lgkmcnt(7)
	v_add_f32_e32 v0, v0, v8
	s_waitcnt lgkmcnt(6)
	v_add_f32_e32 v1, v1, v14
	;; [unrolled: 2-line block ×8, first 2 shown]
	ds_bpermute_b32 v8, v15, v0
	ds_bpermute_b32 v14, v15, v1
	ds_bpermute_b32 v16, v15, v2
	ds_bpermute_b32 v13, v15, v3
	ds_bpermute_b32 v17, v15, v4
	ds_bpermute_b32 v18, v15, v5
	ds_bpermute_b32 v19, v15, v6
	ds_bpermute_b32 v15, v15, v7
	v_cndmask_b32_e64 v0, -v0, v0, s3
	v_cndmask_b32_e64 v1, -v1, v1, s3
	;; [unrolled: 1-line block ×8, first 2 shown]
	s_mul_hi_u32 s3, s14, s6
	s_add_i32 s2, s3, s2
	s_mul_i32 s3, s15, s6
	s_waitcnt lgkmcnt(7)
	v_add_f32_e32 v0, v0, v8
	s_waitcnt lgkmcnt(6)
	v_add_f32_e32 v1, v1, v14
	;; [unrolled: 2-line block ×8, first 2 shown]
	ds_write_b128 v12, v[0:3]
	ds_write_b128 v12, v[4:7] offset:4096
	s_waitcnt lgkmcnt(0)
	s_barrier
	buffer_gl0_inv
	ds_read_b128 v[0:3], v11
	ds_read_b128 v[4:7], v11 offset:4096
	s_add_i32 s3, s2, s3
	s_mul_i32 s2, s14, s6
	s_lshl_b64 s[2:3], s[2:3], 2
	s_add_u32 s2, s10, s2
	s_addc_u32 s3, s11, s3
	s_and_saveexec_b32 s4, vcc_lo
	s_cbranch_execnz .LBB8_7
; %bb.5:
	s_or_b32 exec_lo, exec_lo, s4
	s_and_saveexec_b32 s4, s0
	s_cbranch_execnz .LBB8_8
.LBB8_6:
	s_endpgm
.LBB8_7:
	s_waitcnt lgkmcnt(0)
	v_add_f32_e32 v8, v3, v7
	v_add_f32_e32 v11, v2, v6
	v_add_f32_e32 v12, v1, v5
	v_add_f32_e32 v15, v0, v4
	v_mul_f32_e32 v14, s1, v8
	v_mul_f32_e32 v13, s1, v11
	;; [unrolled: 1-line block ×4, first 2 shown]
	global_store_dwordx4 v9, v[11:14], s[2:3]
	s_or_b32 exec_lo, exec_lo, s4
	s_and_saveexec_b32 s4, s0
	s_cbranch_execz .LBB8_6
.LBB8_8:
	s_waitcnt lgkmcnt(0)
	v_sub_f32_e32 v0, v0, v4
	v_sub_f32_e32 v1, v1, v5
	;; [unrolled: 1-line block ×4, first 2 shown]
	v_mul_f32_e32 v0, s1, v0
	v_mul_f32_e32 v1, s1, v1
	;; [unrolled: 1-line block ×4, first 2 shown]
	global_store_dwordx4 v10, v[0:3], s[2:3]
	s_endpgm
	.section	.rodata,"a",@progbits
	.p2align	6, 0x0
	.amdhsa_kernel _Z30fast_hadamard_transform_kernelI37fast_hadamard_transform_kernel_traitsILi256ELi11EfEEv18HadamardParamsBase
		.amdhsa_group_segment_fixed_size 0
		.amdhsa_private_segment_fixed_size 0
		.amdhsa_kernarg_size 312
		.amdhsa_user_sgpr_count 6
		.amdhsa_user_sgpr_private_segment_buffer 1
		.amdhsa_user_sgpr_dispatch_ptr 0
		.amdhsa_user_sgpr_queue_ptr 0
		.amdhsa_user_sgpr_kernarg_segment_ptr 1
		.amdhsa_user_sgpr_dispatch_id 0
		.amdhsa_user_sgpr_flat_scratch_init 0
		.amdhsa_user_sgpr_private_segment_size 0
		.amdhsa_wavefront_size32 1
		.amdhsa_uses_dynamic_stack 0
		.amdhsa_system_sgpr_private_segment_wavefront_offset 0
		.amdhsa_system_sgpr_workgroup_id_x 1
		.amdhsa_system_sgpr_workgroup_id_y 0
		.amdhsa_system_sgpr_workgroup_id_z 0
		.amdhsa_system_sgpr_workgroup_info 0
		.amdhsa_system_vgpr_workitem_id 0
		.amdhsa_next_free_vgpr 24
		.amdhsa_next_free_sgpr 17
		.amdhsa_reserve_vcc 1
		.amdhsa_reserve_flat_scratch 0
		.amdhsa_float_round_mode_32 0
		.amdhsa_float_round_mode_16_64 0
		.amdhsa_float_denorm_mode_32 3
		.amdhsa_float_denorm_mode_16_64 3
		.amdhsa_dx10_clamp 1
		.amdhsa_ieee_mode 1
		.amdhsa_fp16_overflow 0
		.amdhsa_workgroup_processor_mode 1
		.amdhsa_memory_ordered 1
		.amdhsa_forward_progress 1
		.amdhsa_shared_vgpr_count 0
		.amdhsa_exception_fp_ieee_invalid_op 0
		.amdhsa_exception_fp_denorm_src 0
		.amdhsa_exception_fp_ieee_div_zero 0
		.amdhsa_exception_fp_ieee_overflow 0
		.amdhsa_exception_fp_ieee_underflow 0
		.amdhsa_exception_fp_ieee_inexact 0
		.amdhsa_exception_int_div_zero 0
	.end_amdhsa_kernel
	.section	.text._Z30fast_hadamard_transform_kernelI37fast_hadamard_transform_kernel_traitsILi256ELi11EfEEv18HadamardParamsBase,"axG",@progbits,_Z30fast_hadamard_transform_kernelI37fast_hadamard_transform_kernel_traitsILi256ELi11EfEEv18HadamardParamsBase,comdat
.Lfunc_end8:
	.size	_Z30fast_hadamard_transform_kernelI37fast_hadamard_transform_kernel_traitsILi256ELi11EfEEv18HadamardParamsBase, .Lfunc_end8-_Z30fast_hadamard_transform_kernelI37fast_hadamard_transform_kernel_traitsILi256ELi11EfEEv18HadamardParamsBase
                                        ; -- End function
	.set _Z30fast_hadamard_transform_kernelI37fast_hadamard_transform_kernel_traitsILi256ELi11EfEEv18HadamardParamsBase.num_vgpr, 24
	.set _Z30fast_hadamard_transform_kernelI37fast_hadamard_transform_kernel_traitsILi256ELi11EfEEv18HadamardParamsBase.num_agpr, 0
	.set _Z30fast_hadamard_transform_kernelI37fast_hadamard_transform_kernel_traitsILi256ELi11EfEEv18HadamardParamsBase.numbered_sgpr, 17
	.set _Z30fast_hadamard_transform_kernelI37fast_hadamard_transform_kernel_traitsILi256ELi11EfEEv18HadamardParamsBase.num_named_barrier, 0
	.set _Z30fast_hadamard_transform_kernelI37fast_hadamard_transform_kernel_traitsILi256ELi11EfEEv18HadamardParamsBase.private_seg_size, 0
	.set _Z30fast_hadamard_transform_kernelI37fast_hadamard_transform_kernel_traitsILi256ELi11EfEEv18HadamardParamsBase.uses_vcc, 1
	.set _Z30fast_hadamard_transform_kernelI37fast_hadamard_transform_kernel_traitsILi256ELi11EfEEv18HadamardParamsBase.uses_flat_scratch, 0
	.set _Z30fast_hadamard_transform_kernelI37fast_hadamard_transform_kernel_traitsILi256ELi11EfEEv18HadamardParamsBase.has_dyn_sized_stack, 0
	.set _Z30fast_hadamard_transform_kernelI37fast_hadamard_transform_kernel_traitsILi256ELi11EfEEv18HadamardParamsBase.has_recursion, 0
	.set _Z30fast_hadamard_transform_kernelI37fast_hadamard_transform_kernel_traitsILi256ELi11EfEEv18HadamardParamsBase.has_indirect_call, 0
	.section	.AMDGPU.csdata,"",@progbits
; Kernel info:
; codeLenInByte = 2240
; TotalNumSgprs: 19
; NumVgprs: 24
; ScratchSize: 0
; MemoryBound: 0
; FloatMode: 240
; IeeeMode: 1
; LDSByteSize: 0 bytes/workgroup (compile time only)
; SGPRBlocks: 0
; VGPRBlocks: 2
; NumSGPRsForWavesPerEU: 19
; NumVGPRsForWavesPerEU: 24
; Occupancy: 16
; WaveLimiterHint : 0
; COMPUTE_PGM_RSRC2:SCRATCH_EN: 0
; COMPUTE_PGM_RSRC2:USER_SGPR: 6
; COMPUTE_PGM_RSRC2:TRAP_HANDLER: 0
; COMPUTE_PGM_RSRC2:TGID_X_EN: 1
; COMPUTE_PGM_RSRC2:TGID_Y_EN: 0
; COMPUTE_PGM_RSRC2:TGID_Z_EN: 0
; COMPUTE_PGM_RSRC2:TIDIG_COMP_CNT: 0
	.section	.text._Z30fast_hadamard_transform_kernelI37fast_hadamard_transform_kernel_traitsILi256ELi12EfEEv18HadamardParamsBase,"axG",@progbits,_Z30fast_hadamard_transform_kernelI37fast_hadamard_transform_kernel_traitsILi256ELi12EfEEv18HadamardParamsBase,comdat
	.protected	_Z30fast_hadamard_transform_kernelI37fast_hadamard_transform_kernel_traitsILi256ELi12EfEEv18HadamardParamsBase ; -- Begin function _Z30fast_hadamard_transform_kernelI37fast_hadamard_transform_kernel_traitsILi256ELi12EfEEv18HadamardParamsBase
	.globl	_Z30fast_hadamard_transform_kernelI37fast_hadamard_transform_kernel_traitsILi256ELi12EfEEv18HadamardParamsBase
	.p2align	8
	.type	_Z30fast_hadamard_transform_kernelI37fast_hadamard_transform_kernel_traitsILi256ELi12EfEEv18HadamardParamsBase,@function
_Z30fast_hadamard_transform_kernelI37fast_hadamard_transform_kernel_traitsILi256ELi12EfEEv18HadamardParamsBase: ; @_Z30fast_hadamard_transform_kernelI37fast_hadamard_transform_kernel_traitsILi256ELi12EfEEv18HadamardParamsBase
; %bb.0:
	s_clause 0x3
	s_load_dwordx4 s[16:19], s[4:5], 0x10
	s_load_dword s2, s[4:5], 0x4
	s_load_dwordx4 s[12:15], s[4:5], 0x28
	s_load_dword s0, s[4:5], 0x44
	s_ashr_i32 s11, s6, 31
	v_lshlrev_b32_e32 v2, 2, v0
	v_mov_b32_e32 v1, 0
	v_mov_b32_e32 v5, 0
	;; [unrolled: 1-line block ×4, first 2 shown]
	v_lshlrev_b32_e32 v17, 4, v0
	v_mov_b32_e32 v8, 0
	s_waitcnt lgkmcnt(0)
	s_mul_hi_u32 s1, s16, s6
	s_mul_i32 s3, s16, s11
	s_mul_i32 s7, s17, s6
	s_add_i32 s1, s1, s3
	s_mul_i32 s8, s16, s6
	s_add_i32 s9, s1, s7
	v_cmp_gt_u32_e32 vcc_lo, s2, v2
	s_lshl_b64 s[8:9], s[8:9], 2
	s_add_u32 s8, s12, s8
	s_addc_u32 s9, s13, s9
	s_and_saveexec_b32 s1, vcc_lo
	s_cbranch_execz .LBB9_2
; %bb.1:
	global_load_dwordx4 v[5:8], v17, s[8:9]
.LBB9_2:
	s_or_b32 exec_lo, exec_lo, s1
	s_and_b32 s3, 0xffff, s0
	v_mov_b32_e32 v2, 0
	v_add_nc_u32_e32 v9, s3, v0
	v_mov_b32_e32 v3, 0
	v_lshlrev_b32_e32 v4, 2, v9
	v_lshlrev_b32_e32 v18, 4, v9
	v_cmp_gt_u32_e64 s0, s2, v4
	v_mov_b32_e32 v4, 0
	s_and_saveexec_b32 s1, s0
	s_cbranch_execz .LBB9_4
; %bb.3:
	global_load_dwordx4 v[1:4], v18, s[8:9]
.LBB9_4:
	s_or_b32 exec_lo, exec_lo, s1
	v_add_nc_u32_e32 v10, s3, v9
	v_mov_b32_e32 v9, 0
	v_mov_b32_e32 v13, 0
	;; [unrolled: 1-line block ×4, first 2 shown]
	v_lshlrev_b32_e32 v11, 2, v10
	v_lshlrev_b32_e32 v19, 4, v10
	v_mov_b32_e32 v16, 0
	v_cmp_gt_u32_e64 s1, s2, v11
	s_and_saveexec_b32 s7, s1
	s_cbranch_execz .LBB9_6
; %bb.5:
	global_load_dwordx4 v[13:16], v19, s[8:9]
.LBB9_6:
	s_or_b32 exec_lo, exec_lo, s7
	v_add_nc_u32_e32 v12, s3, v10
	v_mov_b32_e32 v10, 0
	v_mov_b32_e32 v11, 0
	v_lshlrev_b32_e32 v21, 2, v12
	v_lshlrev_b32_e32 v20, 4, v12
	v_mov_b32_e32 v12, 0
	v_cmp_gt_u32_e64 s2, s2, v21
	s_and_saveexec_b32 s3, s2
	s_cbranch_execz .LBB9_8
; %bb.7:
	global_load_dwordx4 v[9:12], v20, s[8:9]
.LBB9_8:
	s_or_b32 exec_lo, exec_lo, s3
	s_waitcnt vmcnt(0)
	v_add_f32_e32 v22, v13, v14
	v_sub_f32_e32 v13, v13, v14
	v_add_f32_e32 v14, v9, v10
	v_sub_f32_e32 v9, v9, v10
	v_mbcnt_lo_u32_b32 v10, -1, 0
	v_add_f32_e32 v21, v5, v6
	v_sub_f32_e32 v5, v5, v6
	v_add_f32_e32 v6, v1, v2
	v_sub_f32_e32 v2, v1, v2
	v_xor_b32_e32 v23, 1, v10
	v_add_f32_e32 v1, v7, v8
	v_sub_f32_e32 v7, v7, v8
	v_add_f32_e32 v8, v3, v4
	v_sub_f32_e32 v3, v3, v4
	v_cmp_gt_i32_e64 s3, 32, v23
	v_add_f32_e32 v4, v15, v16
	v_sub_f32_e32 v15, v15, v16
	v_add_f32_e32 v16, v11, v12
	v_sub_f32_e32 v11, v11, v12
	v_cndmask_b32_e64 v23, v10, v23, s3
	v_add_f32_e32 v12, v21, v1
	v_sub_f32_e32 v21, v21, v1
	v_add_f32_e32 v24, v6, v8
	v_sub_f32_e32 v6, v6, v8
	v_lshlrev_b32_e32 v1, 2, v23
	v_add_f32_e32 v23, v5, v7
	v_sub_f32_e32 v5, v5, v7
	v_and_b32_e32 v7, 1, v0
	v_add_f32_e32 v8, v22, v4
	v_sub_f32_e32 v4, v22, v4
	v_add_f32_e32 v22, v14, v16
	v_sub_f32_e32 v14, v14, v16
	ds_bpermute_b32 v16, v1, v12
	ds_bpermute_b32 v26, v1, v21
	v_add_f32_e32 v27, v2, v3
	v_sub_f32_e32 v2, v2, v3
	v_cmp_eq_u32_e64 s3, 0, v7
	ds_bpermute_b32 v25, v1, v23
	v_add_f32_e32 v3, v13, v15
	v_sub_f32_e32 v13, v13, v15
	ds_bpermute_b32 v15, v1, v24
	v_cndmask_b32_e64 v7, -v12, v12, s3
	ds_bpermute_b32 v12, v1, v5
	ds_bpermute_b32 v30, v1, v2
	;; [unrolled: 1-line block ×3, first 2 shown]
	v_cndmask_b32_e64 v21, -v21, v21, s3
	v_cndmask_b32_e64 v23, -v23, v23, s3
	;; [unrolled: 1-line block ×4, first 2 shown]
	v_add_f32_e32 v31, v9, v11
	v_sub_f32_e32 v9, v9, v11
	ds_bpermute_b32 v29, v1, v6
	s_waitcnt lgkmcnt(7)
	v_add_f32_e32 v7, v7, v16
	s_waitcnt lgkmcnt(6)
	v_add_f32_e32 v16, v21, v26
	v_cndmask_b32_e64 v21, -v24, v24, s3
	ds_bpermute_b32 v24, v1, v3
	v_cndmask_b32_e64 v26, -v27, v27, s3
	s_waitcnt lgkmcnt(6)
	v_add_f32_e32 v11, v23, v25
	ds_bpermute_b32 v23, v1, v8
	ds_bpermute_b32 v25, v1, v4
	;; [unrolled: 1-line block ×3, first 2 shown]
	v_cndmask_b32_e64 v3, -v3, v3, s3
	s_waitcnt lgkmcnt(7)
	v_add_f32_e32 v5, v5, v12
	v_add_f32_e32 v12, v21, v15
	s_waitcnt lgkmcnt(6)
	v_add_f32_e32 v21, v2, v30
	v_cndmask_b32_e64 v2, -v8, v8, s3
	ds_bpermute_b32 v8, v1, v13
	s_waitcnt lgkmcnt(6)
	v_add_f32_e32 v15, v26, v28
	v_xor_b32_e32 v26, 2, v10
	ds_bpermute_b32 v28, v1, v31
	v_cndmask_b32_e64 v4, -v4, v4, s3
	v_cndmask_b32_e64 v13, -v13, v13, s3
	;; [unrolled: 1-line block ×3, first 2 shown]
	v_cmp_gt_i32_e64 s7, 32, v26
	v_cndmask_b32_e64 v6, -v6, v6, s3
	s_waitcnt lgkmcnt(5)
	v_add_f32_e32 v3, v3, v24
	v_cndmask_b32_e64 v24, -v31, v31, s3
	s_waitcnt lgkmcnt(0)
	v_cndmask_b32_e64 v26, v10, v26, s7
	v_add_f32_e32 v23, v2, v23
	v_add_f32_e32 v4, v4, v25
	ds_bpermute_b32 v25, v1, v14
	v_add_f32_e32 v22, v22, v27
	v_lshlrev_b32_e32 v2, 2, v26
	ds_bpermute_b32 v26, v1, v9
	v_cndmask_b32_e64 v14, -v14, v14, s3
	v_add_f32_e32 v8, v13, v8
	v_and_b32_e32 v13, 2, v0
	ds_bpermute_b32 v27, v2, v12
	v_add_f32_e32 v24, v24, v28
	ds_bpermute_b32 v28, v2, v15
	ds_bpermute_b32 v33, v2, v21
	v_cmp_eq_u32_e64 s7, 0, v13
	ds_bpermute_b32 v13, v2, v5
	ds_bpermute_b32 v30, v2, v11
	v_cndmask_b32_e64 v9, -v9, v9, s3
	v_add_f32_e32 v6, v6, v29
	ds_bpermute_b32 v29, v2, v7
	v_cndmask_b32_e64 v5, -v5, v5, s7
	v_cndmask_b32_e64 v12, -v12, v12, s7
	;; [unrolled: 1-line block ×3, first 2 shown]
	s_waitcnt lgkmcnt(7)
	v_add_f32_e32 v14, v14, v25
	ds_bpermute_b32 v25, v2, v23
	v_cndmask_b32_e64 v21, -v21, v21, s7
	s_waitcnt lgkmcnt(7)
	v_add_f32_e32 v9, v9, v26
	ds_bpermute_b32 v26, v2, v3
	v_cndmask_b32_e64 v11, -v11, v11, s7
	v_cndmask_b32_e64 v7, -v7, v7, s7
	s_waitcnt lgkmcnt(7)
	v_add_f32_e32 v12, v12, v27
	v_xor_b32_e32 v27, 4, v10
	v_cndmask_b32_e64 v3, -v3, v3, s7
	ds_bpermute_b32 v31, v2, v16
	ds_bpermute_b32 v32, v2, v6
	s_waitcnt lgkmcnt(6)
	v_add_f32_e32 v5, v5, v13
	v_add_f32_e32 v13, v15, v28
	;; [unrolled: 1-line block ×3, first 2 shown]
	v_cndmask_b32_e64 v21, -v23, v23, s7
	ds_bpermute_b32 v23, v2, v8
	s_waitcnt lgkmcnt(6)
	v_add_f32_e32 v11, v11, v30
	ds_bpermute_b32 v28, v2, v22
	ds_bpermute_b32 v30, v2, v24
	v_cmp_gt_i32_e64 s8, 32, v27
	s_waitcnt lgkmcnt(7)
	v_add_f32_e32 v7, v7, v29
	ds_bpermute_b32 v29, v2, v4
	s_waitcnt lgkmcnt(7)
	v_add_f32_e32 v21, v21, v25
	s_waitcnt lgkmcnt(6)
	v_add_f32_e32 v25, v3, v26
	v_cndmask_b32_e64 v27, v10, v27, s8
	v_cndmask_b32_e64 v8, -v8, v8, s7
	v_cndmask_b32_e64 v22, -v22, v22, s7
	;; [unrolled: 1-line block ×3, first 2 shown]
	ds_bpermute_b32 v26, v2, v14
	v_lshlrev_b32_e32 v3, 2, v27
	ds_bpermute_b32 v27, v2, v9
	v_cndmask_b32_e64 v16, -v16, v16, s7
	v_cndmask_b32_e64 v4, -v4, v4, s7
	;; [unrolled: 1-line block ×4, first 2 shown]
	s_waitcnt lgkmcnt(5)
	v_add_f32_e32 v8, v8, v23
	v_and_b32_e32 v23, 4, v0
	s_waitcnt lgkmcnt(4)
	v_add_f32_e32 v22, v22, v28
	s_waitcnt lgkmcnt(3)
	v_add_f32_e32 v24, v24, v30
	ds_bpermute_b32 v28, v3, v12
	ds_bpermute_b32 v30, v3, v13
	v_cmp_eq_u32_e64 s8, 0, v23
	ds_bpermute_b32 v23, v3, v5
	v_add_f32_e32 v16, v16, v31
	s_waitcnt lgkmcnt(5)
	v_add_f32_e32 v4, v4, v29
	ds_bpermute_b32 v29, v3, v7
	v_cndmask_b32_e64 v14, -v14, v14, s7
	v_add_f32_e32 v6, v6, v32
	ds_bpermute_b32 v31, v3, v11
	ds_bpermute_b32 v32, v3, v16
	s_waitcnt lgkmcnt(6)
	v_add_f32_e32 v9, v9, v27
	ds_bpermute_b32 v27, v3, v25
	v_add_f32_e32 v14, v14, v26
	v_cndmask_b32_e64 v5, -v5, v5, s8
	v_cndmask_b32_e64 v12, -v12, v12, s8
	ds_bpermute_b32 v26, v3, v21
	v_cndmask_b32_e64 v13, -v13, v13, s8
	v_cndmask_b32_e64 v7, -v7, v7, s8
	ds_bpermute_b32 v33, v3, v6
	s_waitcnt lgkmcnt(8)
	v_add_f32_e32 v12, v12, v28
	v_xor_b32_e32 v28, 8, v10
	s_waitcnt lgkmcnt(7)
	v_add_f32_e32 v13, v13, v30
	s_waitcnt lgkmcnt(6)
	v_add_f32_e32 v5, v5, v23
	ds_bpermute_b32 v23, v3, v8
	ds_bpermute_b32 v30, v3, v22
	v_cndmask_b32_e64 v25, -v25, v25, s8
	v_cmp_gt_i32_e64 s9, 32, v28
	ds_bpermute_b32 v34, v3, v15
	v_cndmask_b32_e64 v11, -v11, v11, s8
	v_cndmask_b32_e64 v16, -v16, v16, s8
	s_waitcnt lgkmcnt(8)
	v_add_f32_e32 v7, v7, v29
	ds_bpermute_b32 v29, v3, v4
	v_cndmask_b32_e64 v21, -v21, v21, s8
	v_cndmask_b32_e64 v28, v10, v28, s9
	s_waitcnt lgkmcnt(6)
	v_add_f32_e32 v25, v25, v27
	ds_bpermute_b32 v27, v3, v14
	v_add_f32_e32 v11, v11, v31
	v_add_f32_e32 v16, v16, v32
	ds_bpermute_b32 v31, v3, v24
	s_waitcnt lgkmcnt(7)
	v_add_f32_e32 v21, v21, v26
	v_cndmask_b32_e64 v8, -v8, v8, s8
	v_lshlrev_b32_e32 v26, 2, v28
	v_cndmask_b32_e64 v22, -v22, v22, s8
	v_cndmask_b32_e64 v6, -v6, v6, s8
	ds_bpermute_b32 v28, v3, v9
	s_waitcnt lgkmcnt(6)
	v_add_f32_e32 v8, v8, v23
	ds_bpermute_b32 v23, v26, v16
	s_waitcnt lgkmcnt(6)
	v_add_f32_e32 v22, v22, v30
	ds_bpermute_b32 v30, v26, v5
	v_cndmask_b32_e64 v15, -v15, v15, s8
	v_add_f32_e32 v6, v6, v33
	v_cndmask_b32_e64 v4, -v4, v4, s8
	v_and_b32_e32 v33, 8, v0
	v_cndmask_b32_e64 v14, -v14, v14, s8
	s_waitcnt lgkmcnt(6)
	v_add_f32_e32 v15, v15, v34
	v_cndmask_b32_e64 v24, -v24, v24, s8
	s_waitcnt lgkmcnt(5)
	v_add_f32_e32 v4, v4, v29
	ds_bpermute_b32 v29, v26, v7
	ds_bpermute_b32 v32, v26, v11
	v_cmp_eq_u32_e64 s9, 0, v33
	ds_bpermute_b32 v34, v26, v6
	s_waitcnt lgkmcnt(7)
	v_add_f32_e32 v14, v14, v27
	ds_bpermute_b32 v27, v26, v21
	s_waitcnt lgkmcnt(7)
	v_add_f32_e32 v24, v24, v31
	v_cndmask_b32_e64 v9, -v9, v9, s8
	ds_bpermute_b32 v31, v26, v12
	v_cndmask_b32_e64 v16, -v16, v16, s9
	v_cndmask_b32_e64 v5, -v5, v5, s9
	ds_bpermute_b32 v33, v26, v13
	s_waitcnt lgkmcnt(8)
	v_add_f32_e32 v9, v9, v28
	ds_bpermute_b32 v35, v26, v15
	s_waitcnt lgkmcnt(8)
	v_add_f32_e32 v16, v16, v23
	;; [unrolled: 3-line block ×3, first 2 shown]
	v_xor_b32_e32 v30, 16, v10
	v_cndmask_b32_e64 v7, -v7, v7, s9
	v_cndmask_b32_e64 v11, -v11, v11, s9
	;; [unrolled: 1-line block ×4, first 2 shown]
	v_cmp_gt_i32_e64 s10, 32, v30
	s_waitcnt lgkmcnt(7)
	v_add_f32_e32 v7, v7, v29
	s_waitcnt lgkmcnt(6)
	v_add_f32_e32 v11, v11, v32
	v_cndmask_b32_e64 v12, -v12, v12, s9
	s_waitcnt lgkmcnt(5)
	v_add_f32_e32 v29, v6, v34
	ds_bpermute_b32 v6, v26, v4
	ds_bpermute_b32 v21, v26, v8
	;; [unrolled: 1-line block ×3, first 2 shown]
	s_waitcnt lgkmcnt(7)
	v_add_f32_e32 v27, v5, v27
	v_cndmask_b32_e64 v5, v10, v30, s10
	v_cndmask_b32_e64 v13, -v13, v13, s9
	s_waitcnt lgkmcnt(6)
	v_add_f32_e32 v12, v12, v31
	ds_bpermute_b32 v31, v26, v22
	v_cndmask_b32_e64 v25, -v25, v25, s9
	v_cndmask_b32_e64 v10, -v22, v22, s9
	v_lshlrev_b32_e32 v22, 2, v5
	v_cndmask_b32_e64 v15, -v15, v15, s9
	s_waitcnt lgkmcnt(6)
	v_add_f32_e32 v13, v13, v33
	s_waitcnt lgkmcnt(4)
	v_add_f32_e32 v23, v25, v23
	v_cndmask_b32_e64 v5, -v24, v24, s9
	ds_bpermute_b32 v24, v26, v14
	ds_bpermute_b32 v25, v26, v9
	v_and_b32_e32 v26, 16, v0
	ds_bpermute_b32 v30, v22, v7
	ds_bpermute_b32 v33, v22, v11
	;; [unrolled: 1-line block ×3, first 2 shown]
	v_add_f32_e32 v15, v15, v35
	v_cndmask_b32_e64 v4, -v4, v4, s9
	v_cndmask_b32_e64 v8, -v8, v8, s9
	v_cmp_eq_u32_e64 s10, 0, v26
	s_waitcnt lgkmcnt(6)
	v_add_f32_e32 v26, v5, v32
	v_cndmask_b32_e64 v5, -v9, v9, s9
	v_add_f32_e32 v35, v4, v6
	v_add_f32_e32 v21, v8, v21
	v_cndmask_b32_e64 v6, -v7, v7, s10
	v_cndmask_b32_e64 v7, -v11, v11, s10
	;; [unrolled: 1-line block ×3, first 2 shown]
	ds_bpermute_b32 v9, v22, v28
	ds_bpermute_b32 v11, v22, v13
	ds_bpermute_b32 v16, v22, v15
	s_waitcnt lgkmcnt(8)
	v_add_f32_e32 v31, v10, v31
	v_cndmask_b32_e64 v4, -v14, v14, s9
	ds_bpermute_b32 v10, v22, v12
	ds_bpermute_b32 v14, v22, v29
	s_waitcnt lgkmcnt(8)
	v_add_f32_e32 v25, v5, v25
	s_waitcnt lgkmcnt(6)
	v_add_f32_e32 v5, v7, v33
	v_add_f32_e32 v24, v4, v24
	;; [unrolled: 1-line block ×3, first 2 shown]
	s_waitcnt lgkmcnt(5)
	v_add_f32_e32 v6, v8, v34
	v_cndmask_b32_e64 v7, -v28, v28, s10
	v_cndmask_b32_e64 v8, -v12, v12, s10
	;; [unrolled: 1-line block ×3, first 2 shown]
	ds_bpermute_b32 v13, v22, v27
	ds_bpermute_b32 v28, v22, v23
	;; [unrolled: 1-line block ×5, first 2 shown]
	v_cndmask_b32_e64 v15, -v15, v15, s10
	v_cndmask_b32_e64 v29, -v29, v29, s10
	s_waitcnt lgkmcnt(9)
	v_add_f32_e32 v7, v7, v9
	s_waitcnt lgkmcnt(8)
	v_add_f32_e32 v9, v12, v11
	v_cndmask_b32_e64 v12, -v27, v27, s10
	s_waitcnt lgkmcnt(7)
	v_add_f32_e32 v11, v15, v16
	ds_bpermute_b32 v16, v22, v26
	s_waitcnt lgkmcnt(7)
	v_add_f32_e32 v8, v8, v10
	s_waitcnt lgkmcnt(6)
	v_add_f32_e32 v10, v29, v14
	ds_bpermute_b32 v27, v22, v24
	ds_bpermute_b32 v29, v22, v25
	v_cndmask_b32_e64 v14, -v23, v23, s10
	v_cndmask_b32_e64 v15, -v35, v35, s10
	;; [unrolled: 1-line block ×4, first 2 shown]
	s_waitcnt lgkmcnt(7)
	v_add_f32_e32 v12, v12, v13
	s_waitcnt lgkmcnt(6)
	v_add_f32_e32 v13, v14, v28
	;; [unrolled: 2-line block ×5, first 2 shown]
	v_lshrrev_b32_e32 v22, 5, v0
	v_and_b32_e32 v28, 7, v0
	v_lshrrev_b32_e32 v23, 3, v0
	v_cndmask_b32_e64 v26, -v26, v26, s10
	v_cndmask_b32_e64 v24, -v24, v24, s10
	v_xor_b32_e32 v0, v22, v0
	v_cndmask_b32_e64 v25, -v25, v25, s10
	v_lshl_or_b32 v30, v28, 5, v23
	s_waitcnt lgkmcnt(2)
	v_add_f32_e32 v22, v26, v16
	s_waitcnt lgkmcnt(1)
	v_add_f32_e32 v23, v24, v27
	v_lshl_add_u32 v16, v0, 4, 0
	s_waitcnt lgkmcnt(0)
	v_add_f32_e32 v24, v25, v29
	v_xor_b32_e32 v0, v30, v28
	s_barrier
	buffer_gl0_inv
	ds_write_b128 v16, v[4:7]
	ds_write_b128 v16, v[8:11] offset:4096
	ds_write_b128 v16, v[12:15] offset:8192
	;; [unrolled: 1-line block ×3, first 2 shown]
	v_lshl_add_u32 v25, v0, 4, 0
	s_waitcnt lgkmcnt(0)
	s_barrier
	buffer_gl0_inv
	ds_read_b128 v[4:7], v25
	ds_read_b128 v[8:11], v25 offset:4096
	ds_read_b128 v[12:15], v25 offset:8192
	;; [unrolled: 1-line block ×3, first 2 shown]
	s_waitcnt lgkmcnt(0)
	s_barrier
	buffer_gl0_inv
	ds_bpermute_b32 v0, v1, v4
	ds_bpermute_b32 v26, v1, v5
	;; [unrolled: 1-line block ×7, first 2 shown]
	v_cndmask_b32_e64 v4, -v4, v4, s3
	v_cndmask_b32_e64 v5, -v5, v5, s3
	;; [unrolled: 1-line block ×3, first 2 shown]
	ds_bpermute_b32 v32, v1, v11
	ds_bpermute_b32 v33, v1, v15
	;; [unrolled: 1-line block ×3, first 2 shown]
	v_cndmask_b32_e64 v15, -v15, v15, s3
	v_cndmask_b32_e64 v21, -v21, v21, s3
	s_waitcnt lgkmcnt(9)
	v_add_f32_e32 v0, v4, v0
	s_waitcnt lgkmcnt(8)
	v_add_f32_e32 v4, v5, v26
	;; [unrolled: 2-line block ×3, first 2 shown]
	v_cndmask_b32_e64 v6, -v7, v7, s3
	v_cndmask_b32_e64 v7, -v8, v8, s3
	;; [unrolled: 1-line block ×5, first 2 shown]
	ds_bpermute_b32 v11, v1, v12
	ds_bpermute_b32 v26, v1, v13
	;; [unrolled: 1-line block ×3, first 2 shown]
	s_waitcnt lgkmcnt(9)
	v_add_f32_e32 v6, v6, v28
	s_waitcnt lgkmcnt(8)
	v_add_f32_e32 v7, v7, v29
	;; [unrolled: 2-line block ×3, first 2 shown]
	ds_bpermute_b32 v28, v1, v22
	ds_bpermute_b32 v29, v1, v23
	;; [unrolled: 1-line block ×4, first 2 shown]
	s_waitcnt lgkmcnt(10)
	v_add_f32_e32 v8, v8, v30
	ds_bpermute_b32 v30, v2, v0
	v_cndmask_b32_e64 v12, -v12, v12, s3
	v_cndmask_b32_e64 v13, -v13, v13, s3
	;; [unrolled: 1-line block ×3, first 2 shown]
	s_waitcnt lgkmcnt(10)
	v_add_f32_e32 v10, v10, v32
	v_cndmask_b32_e64 v4, -v4, v4, s7
	ds_bpermute_b32 v32, v2, v8
	v_cndmask_b32_e64 v0, -v0, v0, s7
	s_waitcnt lgkmcnt(8)
	v_add_f32_e32 v11, v12, v11
	s_waitcnt lgkmcnt(7)
	v_add_f32_e32 v12, v13, v26
	;; [unrolled: 2-line block ×3, first 2 shown]
	v_add_f32_e32 v14, v15, v33
	v_add_f32_e32 v15, v21, v34
	v_cndmask_b32_e64 v21, -v22, v22, s3
	v_cndmask_b32_e64 v22, -v23, v23, s3
	;; [unrolled: 1-line block ×3, first 2 shown]
	ds_bpermute_b32 v24, v2, v5
	ds_bpermute_b32 v26, v2, v6
	;; [unrolled: 1-line block ×4, first 2 shown]
	s_waitcnt lgkmcnt(7)
	v_add_f32_e32 v1, v23, v1
	s_waitcnt lgkmcnt(6)
	v_add_f32_e32 v23, v4, v31
	v_cndmask_b32_e64 v4, -v5, v5, s7
	v_cndmask_b32_e64 v5, -v6, v6, s7
	;; [unrolled: 1-line block ×5, first 2 shown]
	ds_bpermute_b32 v9, v2, v10
	v_add_f32_e32 v21, v21, v28
	v_add_f32_e32 v22, v22, v29
	s_waitcnt lgkmcnt(6)
	v_add_f32_e32 v0, v0, v30
	ds_bpermute_b32 v28, v2, v11
	ds_bpermute_b32 v29, v2, v12
	;; [unrolled: 1-line block ×4, first 2 shown]
	s_waitcnt lgkmcnt(9)
	v_add_f32_e32 v7, v7, v32
	s_waitcnt lgkmcnt(8)
	v_add_f32_e32 v24, v4, v24
	v_cndmask_b32_e64 v4, -v10, v10, s7
	v_cndmask_b32_e64 v10, -v11, v11, s7
	;; [unrolled: 1-line block ×5, first 2 shown]
	ds_bpermute_b32 v14, v2, v15
	ds_bpermute_b32 v32, v3, v0
	s_waitcnt lgkmcnt(9)
	v_add_f32_e32 v5, v5, v26
	s_waitcnt lgkmcnt(8)
	v_add_f32_e32 v6, v6, v27
	ds_bpermute_b32 v26, v2, v21
	ds_bpermute_b32 v27, v2, v22
	;; [unrolled: 1-line block ×3, first 2 shown]
	s_waitcnt lgkmcnt(9)
	v_add_f32_e32 v9, v4, v9
	v_cndmask_b32_e64 v4, -v15, v15, s7
	v_cndmask_b32_e64 v15, -v21, v21, s7
	v_cndmask_b32_e64 v21, -v22, v22, s7
	ds_bpermute_b32 v22, v3, v23
	s_waitcnt lgkmcnt(9)
	v_add_f32_e32 v10, v10, v28
	s_waitcnt lgkmcnt(8)
	v_add_f32_e32 v11, v11, v29
	s_waitcnt lgkmcnt(7)
	v_add_f32_e32 v12, v12, v30
	s_waitcnt lgkmcnt(6)
	v_add_f32_e32 v13, v13, v31
	ds_bpermute_b32 v28, v3, v24
	ds_bpermute_b32 v29, v3, v5
	;; [unrolled: 1-line block ×4, first 2 shown]
	v_cndmask_b32_e64 v0, -v0, v0, s8
	v_cndmask_b32_e64 v1, -v1, v1, s7
	v_add_f32_e32 v8, v8, v33
	s_waitcnt lgkmcnt(9)
	v_add_f32_e32 v14, v4, v14
	s_waitcnt lgkmcnt(7)
	v_add_f32_e32 v15, v15, v26
	v_add_f32_e32 v4, v0, v32
	v_cndmask_b32_e64 v0, -v23, v23, s8
	s_waitcnt lgkmcnt(6)
	v_add_f32_e32 v21, v21, v27
	s_waitcnt lgkmcnt(5)
	v_add_f32_e32 v26, v1, v2
	v_cndmask_b32_e64 v1, -v24, v24, s8
	v_cndmask_b32_e64 v2, -v5, v5, s8
	;; [unrolled: 1-line block ×4, first 2 shown]
	ds_bpermute_b32 v27, v3, v8
	ds_bpermute_b32 v32, v3, v9
	;; [unrolled: 1-line block ×5, first 2 shown]
	s_waitcnt lgkmcnt(9)
	v_add_f32_e32 v5, v0, v22
	ds_bpermute_b32 v22, v3, v13
	s_waitcnt lgkmcnt(9)
	v_add_f32_e32 v6, v1, v28
	s_waitcnt lgkmcnt(8)
	v_add_f32_e32 v7, v2, v29
	;; [unrolled: 2-line block ×4, first 2 shown]
	ds_bpermute_b32 v23, v3, v14
	ds_bpermute_b32 v24, v3, v15
	ds_bpermute_b32 v28, v3, v21
	ds_bpermute_b32 v29, v3, v26
	v_cndmask_b32_e64 v2, -v8, v8, s8
	v_cndmask_b32_e64 v3, -v9, v9, s8
	;; [unrolled: 1-line block ×10, first 2 shown]
	s_waitcnt lgkmcnt(9)
	v_add_f32_e32 v2, v2, v27
	s_waitcnt lgkmcnt(8)
	v_add_f32_e32 v3, v3, v32
	;; [unrolled: 2-line block ×10, first 2 shown]
	ds_write_b128 v25, v[4:7]
	ds_write_b128 v25, v[0:3] offset:4096
	ds_write_b128 v25, v[8:11] offset:8192
	;; [unrolled: 1-line block ×3, first 2 shown]
	s_waitcnt lgkmcnt(0)
	s_barrier
	buffer_gl0_inv
	ds_read_b128 v[8:11], v16
	ds_read_b128 v[12:15], v16 offset:4096
	ds_read_b128 v[0:3], v16 offset:8192
	;; [unrolled: 1-line block ×3, first 2 shown]
	s_load_dword s3, s[4:5], 0x20
	s_mul_i32 s4, s18, s11
	s_mul_hi_u32 s5, s18, s6
	s_add_i32 s4, s5, s4
	s_mul_i32 s5, s19, s6
	s_add_i32 s5, s4, s5
	s_mul_i32 s4, s18, s6
	s_lshl_b64 s[4:5], s[4:5], 2
	s_add_u32 s4, s14, s4
	s_addc_u32 s5, s15, s5
	s_waitcnt lgkmcnt(0)
	v_add_f32_e32 v16, v8, v12
	v_add_f32_e32 v21, v9, v13
	;; [unrolled: 1-line block ×8, first 2 shown]
	s_and_saveexec_b32 s6, vcc_lo
	s_cbranch_execz .LBB9_10
; %bb.9:
	v_add_f32_e32 v28, v23, v27
	v_add_f32_e32 v29, v22, v26
	;; [unrolled: 1-line block ×4, first 2 shown]
	v_mul_f32_e32 v31, s3, v28
	v_mul_f32_e32 v30, s3, v29
	v_mul_f32_e32 v29, s3, v32
	v_mul_f32_e32 v28, s3, v33
	global_store_dwordx4 v17, v[28:31], s[4:5]
.LBB9_10:
	s_or_b32 exec_lo, exec_lo, s6
	v_sub_f32_e32 v8, v8, v12
	v_sub_f32_e32 v9, v9, v13
	;; [unrolled: 1-line block ×8, first 2 shown]
	s_and_saveexec_b32 s6, s0
	s_cbranch_execnz .LBB9_14
; %bb.11:
	s_or_b32 exec_lo, exec_lo, s6
	s_and_saveexec_b32 s0, s1
	s_cbranch_execnz .LBB9_15
.LBB9_12:
	s_or_b32 exec_lo, exec_lo, s0
	s_and_saveexec_b32 s0, s2
	s_cbranch_execnz .LBB9_16
.LBB9_13:
	s_endpgm
.LBB9_14:
	v_add_f32_e32 v4, v8, v0
	v_add_f32_e32 v5, v9, v1
	;; [unrolled: 1-line block ×4, first 2 shown]
	v_mul_f32_e32 v4, s3, v4
	v_mul_f32_e32 v5, s3, v5
	v_mul_f32_e32 v6, s3, v6
	v_mul_f32_e32 v7, s3, v7
	global_store_dwordx4 v18, v[4:7], s[4:5]
	s_or_b32 exec_lo, exec_lo, s6
	s_and_saveexec_b32 s0, s1
	s_cbranch_execz .LBB9_12
.LBB9_15:
	v_sub_f32_e32 v4, v16, v24
	v_sub_f32_e32 v5, v21, v25
	;; [unrolled: 1-line block ×4, first 2 shown]
	v_mul_f32_e32 v4, s3, v4
	v_mul_f32_e32 v5, s3, v5
	;; [unrolled: 1-line block ×4, first 2 shown]
	global_store_dwordx4 v19, v[4:7], s[4:5]
	s_or_b32 exec_lo, exec_lo, s0
	s_and_saveexec_b32 s0, s2
	s_cbranch_execz .LBB9_13
.LBB9_16:
	v_sub_f32_e32 v0, v8, v0
	v_sub_f32_e32 v1, v9, v1
	;; [unrolled: 1-line block ×4, first 2 shown]
	v_mul_f32_e32 v0, s3, v0
	v_mul_f32_e32 v1, s3, v1
	;; [unrolled: 1-line block ×4, first 2 shown]
	global_store_dwordx4 v20, v[0:3], s[4:5]
	s_endpgm
	.section	.rodata,"a",@progbits
	.p2align	6, 0x0
	.amdhsa_kernel _Z30fast_hadamard_transform_kernelI37fast_hadamard_transform_kernel_traitsILi256ELi12EfEEv18HadamardParamsBase
		.amdhsa_group_segment_fixed_size 0
		.amdhsa_private_segment_fixed_size 0
		.amdhsa_kernarg_size 312
		.amdhsa_user_sgpr_count 6
		.amdhsa_user_sgpr_private_segment_buffer 1
		.amdhsa_user_sgpr_dispatch_ptr 0
		.amdhsa_user_sgpr_queue_ptr 0
		.amdhsa_user_sgpr_kernarg_segment_ptr 1
		.amdhsa_user_sgpr_dispatch_id 0
		.amdhsa_user_sgpr_flat_scratch_init 0
		.amdhsa_user_sgpr_private_segment_size 0
		.amdhsa_wavefront_size32 1
		.amdhsa_uses_dynamic_stack 0
		.amdhsa_system_sgpr_private_segment_wavefront_offset 0
		.amdhsa_system_sgpr_workgroup_id_x 1
		.amdhsa_system_sgpr_workgroup_id_y 0
		.amdhsa_system_sgpr_workgroup_id_z 0
		.amdhsa_system_sgpr_workgroup_info 0
		.amdhsa_system_vgpr_workitem_id 0
		.amdhsa_next_free_vgpr 36
		.amdhsa_next_free_sgpr 20
		.amdhsa_reserve_vcc 1
		.amdhsa_reserve_flat_scratch 0
		.amdhsa_float_round_mode_32 0
		.amdhsa_float_round_mode_16_64 0
		.amdhsa_float_denorm_mode_32 3
		.amdhsa_float_denorm_mode_16_64 3
		.amdhsa_dx10_clamp 1
		.amdhsa_ieee_mode 1
		.amdhsa_fp16_overflow 0
		.amdhsa_workgroup_processor_mode 1
		.amdhsa_memory_ordered 1
		.amdhsa_forward_progress 1
		.amdhsa_shared_vgpr_count 0
		.amdhsa_exception_fp_ieee_invalid_op 0
		.amdhsa_exception_fp_denorm_src 0
		.amdhsa_exception_fp_ieee_div_zero 0
		.amdhsa_exception_fp_ieee_overflow 0
		.amdhsa_exception_fp_ieee_underflow 0
		.amdhsa_exception_fp_ieee_inexact 0
		.amdhsa_exception_int_div_zero 0
	.end_amdhsa_kernel
	.section	.text._Z30fast_hadamard_transform_kernelI37fast_hadamard_transform_kernel_traitsILi256ELi12EfEEv18HadamardParamsBase,"axG",@progbits,_Z30fast_hadamard_transform_kernelI37fast_hadamard_transform_kernel_traitsILi256ELi12EfEEv18HadamardParamsBase,comdat
.Lfunc_end9:
	.size	_Z30fast_hadamard_transform_kernelI37fast_hadamard_transform_kernel_traitsILi256ELi12EfEEv18HadamardParamsBase, .Lfunc_end9-_Z30fast_hadamard_transform_kernelI37fast_hadamard_transform_kernel_traitsILi256ELi12EfEEv18HadamardParamsBase
                                        ; -- End function
	.set _Z30fast_hadamard_transform_kernelI37fast_hadamard_transform_kernel_traitsILi256ELi12EfEEv18HadamardParamsBase.num_vgpr, 36
	.set _Z30fast_hadamard_transform_kernelI37fast_hadamard_transform_kernel_traitsILi256ELi12EfEEv18HadamardParamsBase.num_agpr, 0
	.set _Z30fast_hadamard_transform_kernelI37fast_hadamard_transform_kernel_traitsILi256ELi12EfEEv18HadamardParamsBase.numbered_sgpr, 20
	.set _Z30fast_hadamard_transform_kernelI37fast_hadamard_transform_kernel_traitsILi256ELi12EfEEv18HadamardParamsBase.num_named_barrier, 0
	.set _Z30fast_hadamard_transform_kernelI37fast_hadamard_transform_kernel_traitsILi256ELi12EfEEv18HadamardParamsBase.private_seg_size, 0
	.set _Z30fast_hadamard_transform_kernelI37fast_hadamard_transform_kernel_traitsILi256ELi12EfEEv18HadamardParamsBase.uses_vcc, 1
	.set _Z30fast_hadamard_transform_kernelI37fast_hadamard_transform_kernel_traitsILi256ELi12EfEEv18HadamardParamsBase.uses_flat_scratch, 0
	.set _Z30fast_hadamard_transform_kernelI37fast_hadamard_transform_kernel_traitsILi256ELi12EfEEv18HadamardParamsBase.has_dyn_sized_stack, 0
	.set _Z30fast_hadamard_transform_kernelI37fast_hadamard_transform_kernel_traitsILi256ELi12EfEEv18HadamardParamsBase.has_recursion, 0
	.set _Z30fast_hadamard_transform_kernelI37fast_hadamard_transform_kernel_traitsILi256ELi12EfEEv18HadamardParamsBase.has_indirect_call, 0
	.section	.AMDGPU.csdata,"",@progbits
; Kernel info:
; codeLenInByte = 4176
; TotalNumSgprs: 22
; NumVgprs: 36
; ScratchSize: 0
; MemoryBound: 0
; FloatMode: 240
; IeeeMode: 1
; LDSByteSize: 0 bytes/workgroup (compile time only)
; SGPRBlocks: 0
; VGPRBlocks: 4
; NumSGPRsForWavesPerEU: 22
; NumVGPRsForWavesPerEU: 36
; Occupancy: 16
; WaveLimiterHint : 0
; COMPUTE_PGM_RSRC2:SCRATCH_EN: 0
; COMPUTE_PGM_RSRC2:USER_SGPR: 6
; COMPUTE_PGM_RSRC2:TRAP_HANDLER: 0
; COMPUTE_PGM_RSRC2:TGID_X_EN: 1
; COMPUTE_PGM_RSRC2:TGID_Y_EN: 0
; COMPUTE_PGM_RSRC2:TGID_Z_EN: 0
; COMPUTE_PGM_RSRC2:TIDIG_COMP_CNT: 0
	.section	.text._Z30fast_hadamard_transform_kernelI37fast_hadamard_transform_kernel_traitsILi256ELi13EfEEv18HadamardParamsBase,"axG",@progbits,_Z30fast_hadamard_transform_kernelI37fast_hadamard_transform_kernel_traitsILi256ELi13EfEEv18HadamardParamsBase,comdat
	.protected	_Z30fast_hadamard_transform_kernelI37fast_hadamard_transform_kernel_traitsILi256ELi13EfEEv18HadamardParamsBase ; -- Begin function _Z30fast_hadamard_transform_kernelI37fast_hadamard_transform_kernel_traitsILi256ELi13EfEEv18HadamardParamsBase
	.globl	_Z30fast_hadamard_transform_kernelI37fast_hadamard_transform_kernel_traitsILi256ELi13EfEEv18HadamardParamsBase
	.p2align	8
	.type	_Z30fast_hadamard_transform_kernelI37fast_hadamard_transform_kernel_traitsILi256ELi13EfEEv18HadamardParamsBase,@function
_Z30fast_hadamard_transform_kernelI37fast_hadamard_transform_kernel_traitsILi256ELi13EfEEv18HadamardParamsBase: ; @_Z30fast_hadamard_transform_kernelI37fast_hadamard_transform_kernel_traitsILi256ELi13EfEEv18HadamardParamsBase
; %bb.0:
	s_clause 0x3
	s_load_dwordx4 s[20:23], s[4:5], 0x10
	s_load_dword s9, s[4:5], 0x4
	s_load_dwordx4 s[16:19], s[4:5], 0x28
	s_load_dword s0, s[4:5], 0x44
	s_ashr_i32 s15, s6, 31
	v_lshlrev_b32_e32 v2, 2, v0
	v_mov_b32_e32 v1, 0
	v_mov_b32_e32 v5, 0
	;; [unrolled: 1-line block ×4, first 2 shown]
	v_lshlrev_b32_e32 v35, 4, v0
	v_mov_b32_e32 v8, 0
	s_waitcnt lgkmcnt(0)
	s_mul_hi_u32 s1, s20, s6
	s_mul_i32 s2, s20, s15
	s_mul_i32 s3, s21, s6
	s_add_i32 s1, s1, s2
	s_mul_i32 s10, s20, s6
	s_add_i32 s11, s1, s3
	v_cmp_gt_u32_e64 s2, s9, v2
	s_lshl_b64 s[10:11], s[10:11], 2
	s_add_u32 s10, s16, s10
	s_addc_u32 s11, s17, s11
	s_and_saveexec_b32 s1, s2
	s_cbranch_execz .LBB10_2
; %bb.1:
	global_load_dwordx4 v[5:8], v35, s[10:11]
.LBB10_2:
	s_or_b32 exec_lo, exec_lo, s1
	s_and_b32 s12, 0xffff, s0
	v_mov_b32_e32 v2, 0
	v_add_nc_u32_e32 v9, s12, v0
	v_mov_b32_e32 v3, 0
	v_lshlrev_b32_e32 v4, 2, v9
	v_lshlrev_b32_e32 v33, 4, v9
	v_cmp_gt_u32_e32 vcc_lo, s9, v4
	v_mov_b32_e32 v4, 0
	s_and_saveexec_b32 s0, vcc_lo
	s_cbranch_execz .LBB10_4
; %bb.3:
	global_load_dwordx4 v[1:4], v33, s[10:11]
.LBB10_4:
	s_or_b32 exec_lo, exec_lo, s0
	v_add_nc_u32_e32 v10, s12, v9
	v_mov_b32_e32 v9, 0
	v_mov_b32_e32 v13, 0
	;; [unrolled: 1-line block ×4, first 2 shown]
	v_lshlrev_b32_e32 v11, 2, v10
	v_lshlrev_b32_e32 v34, 4, v10
	v_mov_b32_e32 v16, 0
	v_cmp_gt_u32_e64 s0, s9, v11
	s_and_saveexec_b32 s1, s0
	s_cbranch_execz .LBB10_6
; %bb.5:
	global_load_dwordx4 v[13:16], v34, s[10:11]
.LBB10_6:
	s_or_b32 exec_lo, exec_lo, s1
	v_add_nc_u32_e32 v17, s12, v10
	v_mov_b32_e32 v10, 0
	v_mov_b32_e32 v11, 0
	v_lshlrev_b32_e32 v12, 2, v17
	v_lshlrev_b32_e32 v36, 4, v17
	v_cmp_gt_u32_e64 s1, s9, v12
	v_mov_b32_e32 v12, 0
	s_and_saveexec_b32 s3, s1
	s_cbranch_execz .LBB10_8
; %bb.7:
	global_load_dwordx4 v[9:12], v36, s[10:11]
.LBB10_8:
	s_or_b32 exec_lo, exec_lo, s3
	v_add_nc_u32_e32 v18, s12, v17
	v_mov_b32_e32 v17, 0
	v_mov_b32_e32 v21, 0
	;; [unrolled: 1-line block ×4, first 2 shown]
	v_lshlrev_b32_e32 v19, 2, v18
	v_lshlrev_b32_e32 v37, 4, v18
	v_mov_b32_e32 v24, 0
	v_cmp_gt_u32_e64 s3, s9, v19
	s_and_saveexec_b32 s7, s3
	s_cbranch_execz .LBB10_10
; %bb.9:
	global_load_dwordx4 v[21:24], v37, s[10:11]
.LBB10_10:
	s_or_b32 exec_lo, exec_lo, s7
	v_add_nc_u32_e32 v25, s12, v18
	v_mov_b32_e32 v18, 0
	v_mov_b32_e32 v19, 0
	v_lshlrev_b32_e32 v20, 2, v25
	v_lshlrev_b32_e32 v38, 4, v25
	v_cmp_gt_u32_e64 s7, s9, v20
	v_mov_b32_e32 v20, 0
	s_and_saveexec_b32 s8, s7
	s_cbranch_execz .LBB10_12
; %bb.11:
	global_load_dwordx4 v[17:20], v38, s[10:11]
.LBB10_12:
	s_or_b32 exec_lo, exec_lo, s8
	v_add_nc_u32_e32 v26, s12, v25
	v_mov_b32_e32 v25, 0
	v_mov_b32_e32 v29, 0
	;; [unrolled: 1-line block ×4, first 2 shown]
	v_lshlrev_b32_e32 v27, 2, v26
	v_lshlrev_b32_e32 v39, 4, v26
	v_mov_b32_e32 v32, 0
	v_cmp_gt_u32_e64 s8, s9, v27
	s_and_saveexec_b32 s13, s8
	s_cbranch_execz .LBB10_14
; %bb.13:
	global_load_dwordx4 v[29:32], v39, s[10:11]
.LBB10_14:
	s_or_b32 exec_lo, exec_lo, s13
	v_add_nc_u32_e32 v28, s12, v26
	v_mov_b32_e32 v26, 0
	v_mov_b32_e32 v27, 0
	v_lshlrev_b32_e32 v41, 2, v28
	v_lshlrev_b32_e32 v40, 4, v28
	v_mov_b32_e32 v28, 0
	v_cmp_gt_u32_e64 s9, s9, v41
	s_and_saveexec_b32 s12, s9
	s_cbranch_execz .LBB10_16
; %bb.15:
	global_load_dwordx4 v[25:28], v40, s[10:11]
.LBB10_16:
	s_or_b32 exec_lo, exec_lo, s12
	s_waitcnt vmcnt(0)
	v_add_f32_e32 v41, v5, v6
	v_sub_f32_e32 v5, v5, v6
	v_add_f32_e32 v6, v1, v2
	v_sub_f32_e32 v1, v1, v2
	;; [unrolled: 2-line block ×19, first 2 shown]
	v_mbcnt_lo_u32_b32 v4, -1, 0
	v_add_f32_e32 v42, v14, v16
	v_sub_f32_e32 v14, v14, v16
	v_add_f32_e32 v16, v10, v12
	v_sub_f32_e32 v10, v10, v12
	v_xor_b32_e32 v43, 1, v4
	v_add_f32_e32 v12, v22, v24
	v_sub_f32_e32 v22, v22, v24
	v_add_f32_e32 v24, v18, v20
	v_sub_f32_e32 v18, v18, v20
	v_cmp_gt_i32_e64 s10, 32, v43
	v_add_f32_e32 v20, v30, v32
	v_sub_f32_e32 v30, v30, v32
	v_add_f32_e32 v32, v5, v7
	v_sub_f32_e32 v5, v5, v7
	;; [unrolled: 2-line block ×3, first 2 shown]
	v_cndmask_b32_e64 v1, v4, v43, s10
	v_add_f32_e32 v44, v13, v15
	v_sub_f32_e32 v13, v13, v15
	v_add_f32_e32 v15, v9, v11
	v_sub_f32_e32 v9, v9, v11
	v_lshlrev_b32_e32 v1, 2, v1
	v_add_f32_e32 v11, v21, v23
	v_sub_f32_e32 v21, v21, v23
	v_add_f32_e32 v23, v17, v19
	v_sub_f32_e32 v17, v17, v19
	ds_bpermute_b32 v45, v1, v32
	v_and_b32_e32 v19, 1, v0
	ds_bpermute_b32 v43, v1, v28
	ds_bpermute_b32 v46, v1, v26
	;; [unrolled: 1-line block ×4, first 2 shown]
	v_cmp_eq_u32_e64 s10, 0, v19
	v_add_f32_e32 v49, v29, v31
	v_sub_f32_e32 v19, v29, v31
	v_add_f32_e32 v29, v25, v27
	v_sub_f32_e32 v25, v25, v27
	v_cndmask_b32_e64 v27, -v28, v28, s10
	v_cndmask_b32_e64 v28, -v32, v32, s10
	;; [unrolled: 1-line block ×3, first 2 shown]
	ds_bpermute_b32 v41, v1, v6
	ds_bpermute_b32 v32, v1, v7
	;; [unrolled: 1-line block ×3, first 2 shown]
	v_cndmask_b32_e64 v26, -v26, v26, s10
	v_cndmask_b32_e64 v5, -v5, v5, s10
	;; [unrolled: 1-line block ×3, first 2 shown]
	s_waitcnt lgkmcnt(7)
	v_add_f32_e32 v28, v28, v45
	ds_bpermute_b32 v45, v1, v13
	s_waitcnt lgkmcnt(7)
	v_add_f32_e32 v27, v27, v43
	v_cndmask_b32_e64 v43, -v44, v44, s10
	ds_bpermute_b32 v44, v1, v2
	s_waitcnt lgkmcnt(7)
	v_add_f32_e32 v26, v26, v46
	s_waitcnt lgkmcnt(6)
	v_add_f32_e32 v5, v5, v47
	ds_bpermute_b32 v46, v1, v42
	ds_bpermute_b32 v47, v1, v15
	v_cndmask_b32_e64 v13, -v13, v13, s10
	v_cndmask_b32_e64 v7, -v7, v7, s10
	ds_bpermute_b32 v50, v1, v3
	v_cndmask_b32_e64 v2, -v2, v2, s10
	v_cndmask_b32_e64 v15, -v15, v15, s10
	s_waitcnt lgkmcnt(7)
	v_add_f32_e32 v6, v6, v41
	v_cndmask_b32_e64 v41, -v42, v42, s10
	ds_bpermute_b32 v42, v1, v9
	s_waitcnt lgkmcnt(7)
	v_add_f32_e32 v7, v7, v32
	s_waitcnt lgkmcnt(6)
	v_add_f32_e32 v32, v43, v52
	ds_bpermute_b32 v43, v1, v16
	ds_bpermute_b32 v51, v1, v8
	s_waitcnt lgkmcnt(7)
	v_add_f32_e32 v13, v13, v45
	ds_bpermute_b32 v45, v1, v23
	v_cndmask_b32_e64 v3, -v3, v3, s10
	s_waitcnt lgkmcnt(7)
	v_add_f32_e32 v44, v2, v44
	v_cndmask_b32_e64 v2, -v9, v9, s10
	v_cndmask_b32_e64 v9, -v16, v16, s10
	ds_bpermute_b32 v16, v1, v12
	s_waitcnt lgkmcnt(6)
	v_add_f32_e32 v15, v15, v47
	ds_bpermute_b32 v47, v1, v17
	v_add_f32_e32 v41, v41, v46
	ds_bpermute_b32 v46, v1, v22
	s_waitcnt lgkmcnt(7)
	v_add_f32_e32 v3, v3, v50
	ds_bpermute_b32 v50, v1, v11
	v_cndmask_b32_e64 v8, -v8, v8, s10
	v_cndmask_b32_e64 v17, -v17, v17, s10
	s_waitcnt lgkmcnt(7)
	v_add_f32_e32 v42, v2, v42
	v_cndmask_b32_e64 v2, -v12, v12, s10
	v_cndmask_b32_e64 v12, -v23, v23, s10
	ds_bpermute_b32 v23, v1, v49
	s_waitcnt lgkmcnt(7)
	v_add_f32_e32 v9, v9, v43
	ds_bpermute_b32 v43, v1, v18
	v_add_f32_e32 v31, v31, v48
	s_waitcnt lgkmcnt(6)
	v_add_f32_e32 v12, v12, v45
	v_xor_b32_e32 v45, 2, v4
	ds_bpermute_b32 v48, v1, v14
	v_add_f32_e32 v8, v8, v51
	s_waitcnt lgkmcnt(6)
	v_add_f32_e32 v16, v2, v16
	v_cndmask_b32_e64 v2, -v49, v49, s10
	v_cmp_gt_i32_e64 s11, 32, v45
	ds_bpermute_b32 v51, v1, v10
	v_cndmask_b32_e64 v22, -v22, v22, s10
	s_waitcnt lgkmcnt(6)
	v_add_f32_e32 v17, v17, v47
	ds_bpermute_b32 v47, v1, v29
	v_cndmask_b32_e64 v45, v4, v45, s11
	v_cndmask_b32_e64 v11, -v11, v11, s10
	s_waitcnt lgkmcnt(6)
	v_add_f32_e32 v22, v22, v46
	v_cndmask_b32_e64 v18, -v18, v18, s10
	ds_bpermute_b32 v46, v1, v20
	s_waitcnt lgkmcnt(5)
	v_add_f32_e32 v23, v2, v23
	v_lshlrev_b32_e32 v2, 2, v45
	v_add_f32_e32 v11, v11, v50
	ds_bpermute_b32 v50, v1, v19
	s_waitcnt lgkmcnt(5)
	v_add_f32_e32 v18, v18, v43
	v_and_b32_e32 v43, 2, v0
	ds_bpermute_b32 v45, v2, v27
	v_cndmask_b32_e64 v14, -v14, v14, s10
	v_cndmask_b32_e64 v10, -v10, v10, s10
	;; [unrolled: 1-line block ×3, first 2 shown]
	v_cmp_eq_u32_e64 s11, 0, v43
	ds_bpermute_b32 v49, v1, v25
	s_waitcnt lgkmcnt(6)
	v_add_f32_e32 v14, v14, v48
	ds_bpermute_b32 v48, v1, v24
	s_waitcnt lgkmcnt(6)
	v_add_f32_e32 v10, v10, v51
	v_cndmask_b32_e64 v20, -v20, v20, s10
	ds_bpermute_b32 v51, v2, v26
	s_waitcnt lgkmcnt(6)
	v_add_f32_e32 v29, v29, v47
	v_cndmask_b32_e64 v27, -v27, v27, s11
	ds_bpermute_b32 v43, v2, v7
	ds_bpermute_b32 v47, v2, v3
	v_cndmask_b32_e64 v19, -v19, v19, s10
	s_waitcnt lgkmcnt(7)
	v_add_f32_e32 v20, v20, v46
	ds_bpermute_b32 v46, v2, v6
	ds_bpermute_b32 v52, v1, v21
	v_cndmask_b32_e64 v24, -v24, v24, s10
	s_waitcnt lgkmcnt(7)
	v_add_f32_e32 v27, v27, v45
	ds_bpermute_b32 v45, v2, v44
	v_add_f32_e32 v19, v19, v50
	ds_bpermute_b32 v50, v2, v28
	v_cndmask_b32_e64 v25, -v25, v25, s10
	v_cndmask_b32_e64 v26, -v26, v26, s11
	;; [unrolled: 1-line block ×4, first 2 shown]
	s_waitcnt lgkmcnt(7)
	v_add_f32_e32 v24, v24, v48
	ds_bpermute_b32 v48, v1, v30
	v_add_f32_e32 v25, v25, v49
	ds_bpermute_b32 v49, v2, v32
	s_waitcnt lgkmcnt(8)
	v_add_f32_e32 v26, v26, v51
	v_cndmask_b32_e64 v6, -v6, v6, s11
	ds_bpermute_b32 v51, v2, v41
	s_waitcnt lgkmcnt(8)
	v_add_f32_e32 v7, v7, v43
	s_waitcnt lgkmcnt(7)
	v_add_f32_e32 v43, v3, v47
	v_cndmask_b32_e64 v3, -v44, v44, s11
	ds_bpermute_b32 v44, v2, v42
	v_cndmask_b32_e64 v28, -v28, v28, s11
	s_waitcnt lgkmcnt(7)
	v_add_f32_e32 v6, v6, v46
	ds_bpermute_b32 v46, v2, v9
	s_waitcnt lgkmcnt(6)
	v_add_f32_e32 v45, v3, v45
	v_cndmask_b32_e64 v3, -v42, v42, s11
	ds_bpermute_b32 v42, v2, v16
	v_cndmask_b32_e64 v21, -v21, v21, s10
	s_waitcnt lgkmcnt(6)
	v_add_f32_e32 v28, v28, v50
	ds_bpermute_b32 v50, v2, v13
	v_cndmask_b32_e64 v30, -v30, v30, s10
	v_cndmask_b32_e64 v32, -v32, v32, s11
	v_add_f32_e32 v21, v21, v52
	v_cndmask_b32_e64 v41, -v41, v41, s11
	ds_bpermute_b32 v47, v2, v11
	s_waitcnt lgkmcnt(7)
	v_add_f32_e32 v30, v30, v48
	ds_bpermute_b32 v48, v2, v8
	s_waitcnt lgkmcnt(7)
	v_add_f32_e32 v32, v32, v49
	;; [unrolled: 3-line block ×3, first 2 shown]
	v_cndmask_b32_e64 v9, -v9, v9, s11
	ds_bpermute_b32 v51, v2, v22
	s_waitcnt lgkmcnt(7)
	v_add_f32_e32 v44, v3, v44
	v_cndmask_b32_e64 v3, -v16, v16, s11
	v_cndmask_b32_e64 v16, -v22, v22, s11
	ds_bpermute_b32 v22, v2, v23
	ds_bpermute_b32 v53, v2, v31
	v_cndmask_b32_e64 v13, -v13, v13, s11
	s_waitcnt lgkmcnt(8)
	v_add_f32_e32 v9, v9, v46
	ds_bpermute_b32 v46, v2, v18
	s_waitcnt lgkmcnt(8)
	v_add_f32_e32 v42, v3, v42
	v_cndmask_b32_e64 v3, -v23, v23, s11
	v_xor_b32_e32 v23, 4, v4
	s_waitcnt lgkmcnt(7)
	v_add_f32_e32 v13, v13, v50
	ds_bpermute_b32 v50, v2, v12
	v_cndmask_b32_e64 v8, -v8, v8, s11
	v_cndmask_b32_e64 v11, -v11, v11, s11
	v_cmp_gt_i32_e64 s12, 32, v23
	v_cndmask_b32_e64 v21, -v21, v21, s11
	ds_bpermute_b32 v52, v2, v5
	v_cndmask_b32_e64 v31, -v31, v31, s11
	s_waitcnt lgkmcnt(7)
	v_add_f32_e32 v8, v8, v48
	v_cndmask_b32_e64 v23, v4, v23, s12
	ds_bpermute_b32 v48, v2, v10
	v_add_f32_e32 v11, v11, v47
	s_waitcnt lgkmcnt(7)
	v_add_f32_e32 v21, v21, v49
	ds_bpermute_b32 v47, v2, v19
	v_cndmask_b32_e64 v18, -v18, v18, s11
	ds_bpermute_b32 v49, v2, v29
	s_waitcnt lgkmcnt(7)
	v_add_f32_e32 v22, v3, v22
	v_lshlrev_b32_e32 v3, 2, v23
	s_waitcnt lgkmcnt(6)
	v_add_f32_e32 v31, v31, v53
	ds_bpermute_b32 v53, v2, v14
	v_cndmask_b32_e64 v12, -v12, v12, s11
	s_waitcnt lgkmcnt(6)
	v_add_f32_e32 v18, v18, v46
	ds_bpermute_b32 v46, v3, v27
	v_cndmask_b32_e64 v23, -v29, v29, s11
	v_cndmask_b32_e64 v29, -v30, v30, s11
	s_waitcnt lgkmcnt(6)
	v_add_f32_e32 v12, v12, v50
	ds_bpermute_b32 v50, v2, v30
	v_and_b32_e32 v30, 4, v0
	v_cndmask_b32_e64 v5, -v5, v5, s11
	v_cndmask_b32_e64 v10, -v10, v10, s11
	v_cndmask_b32_e64 v19, -v19, v19, s11
	v_cndmask_b32_e64 v14, -v14, v14, s11
	v_cmp_eq_u32_e64 s12, 0, v30
	s_waitcnt lgkmcnt(6)
	v_add_f32_e32 v5, v5, v52
	ds_bpermute_b32 v52, v2, v15
	s_waitcnt lgkmcnt(6)
	v_add_f32_e32 v10, v10, v48
	ds_bpermute_b32 v48, v2, v20
	;; [unrolled: 3-line block ×3, first 2 shown]
	ds_bpermute_b32 v54, v3, v31
	s_waitcnt lgkmcnt(7)
	v_add_f32_e32 v23, v23, v49
	v_cndmask_b32_e64 v27, -v27, v27, s12
	v_cndmask_b32_e64 v30, -v31, v31, s12
	ds_bpermute_b32 v31, v3, v7
	ds_bpermute_b32 v49, v3, v43
	s_waitcnt lgkmcnt(8)
	v_add_f32_e32 v14, v14, v53
	ds_bpermute_b32 v53, v2, v24
	v_add_f32_e32 v16, v16, v51
	ds_bpermute_b32 v51, v2, v25
	s_waitcnt lgkmcnt(9)
	v_add_f32_e32 v27, v27, v46
	ds_bpermute_b32 v46, v3, v45
	v_cndmask_b32_e64 v15, -v15, v15, s11
	v_cndmask_b32_e64 v20, -v20, v20, s11
	;; [unrolled: 1-line block ×5, first 2 shown]
	s_waitcnt lgkmcnt(8)
	v_add_f32_e32 v15, v15, v52
	ds_bpermute_b32 v52, v2, v17
	v_cndmask_b32_e64 v24, -v24, v24, s11
	v_cndmask_b32_e64 v25, -v25, v25, s11
	s_waitcnt lgkmcnt(8)
	v_add_f32_e32 v20, v20, v48
	ds_bpermute_b32 v48, v3, v6
	s_waitcnt lgkmcnt(8)
	v_add_f32_e32 v28, v28, v47
	ds_bpermute_b32 v47, v3, v13
	s_waitcnt lgkmcnt(7)
	v_add_f32_e32 v7, v7, v31
	s_waitcnt lgkmcnt(6)
	v_add_f32_e32 v31, v43, v49
	v_cndmask_b32_e64 v43, -v45, v45, s12
	ds_bpermute_b32 v45, v3, v44
	s_waitcnt lgkmcnt(6)
	v_add_f32_e32 v24, v24, v53
	ds_bpermute_b32 v53, v3, v5
	v_add_f32_e32 v29, v29, v50
	s_waitcnt lgkmcnt(6)
	v_add_f32_e32 v25, v25, v51
	ds_bpermute_b32 v50, v3, v8
	ds_bpermute_b32 v51, v3, v32
	;; [unrolled: 1-line block ×3, first 2 shown]
	s_waitcnt lgkmcnt(8)
	v_add_f32_e32 v43, v43, v46
	ds_bpermute_b32 v46, v3, v42
	v_cndmask_b32_e64 v17, -v17, v17, s11
	v_add_f32_e32 v30, v30, v54
	v_cndmask_b32_e64 v6, -v6, v6, s12
	ds_bpermute_b32 v54, v3, v14
	v_cndmask_b32_e64 v13, -v13, v13, s12
	v_cndmask_b32_e64 v44, -v44, v44, s12
	s_waitcnt lgkmcnt(9)
	v_add_f32_e32 v17, v17, v52
	ds_bpermute_b32 v52, v3, v26
	v_cndmask_b32_e64 v5, -v5, v5, s12
	v_cndmask_b32_e64 v8, -v8, v8, s12
	;; [unrolled: 1-line block ×3, first 2 shown]
	s_waitcnt lgkmcnt(9)
	v_add_f32_e32 v6, v6, v48
	ds_bpermute_b32 v48, v3, v9
	s_waitcnt lgkmcnt(9)
	v_add_f32_e32 v13, v13, v47
	v_cndmask_b32_e64 v11, -v11, v11, s12
	ds_bpermute_b32 v47, v3, v12
	s_waitcnt lgkmcnt(9)
	v_add_f32_e32 v44, v44, v45
	v_cndmask_b32_e64 v42, -v42, v42, s12
	ds_bpermute_b32 v45, v3, v22
	s_waitcnt lgkmcnt(9)
	v_add_f32_e32 v5, v5, v53
	ds_bpermute_b32 v53, v3, v15
	s_waitcnt lgkmcnt(9)
	v_add_f32_e32 v8, v8, v50
	s_waitcnt lgkmcnt(8)
	v_add_f32_e32 v32, v32, v51
	ds_bpermute_b32 v50, v3, v10
	ds_bpermute_b32 v51, v3, v21
	s_waitcnt lgkmcnt(9)
	v_add_f32_e32 v11, v11, v49
	ds_bpermute_b32 v49, v3, v19
	s_waitcnt lgkmcnt(9)
	v_add_f32_e32 v42, v42, v46
	v_xor_b32_e32 v46, 8, v4
	v_cndmask_b32_e64 v14, -v14, v14, s12
	v_cndmask_b32_e64 v26, -v26, v26, s12
	v_cndmask_b32_e64 v9, -v9, v9, s12
	v_cndmask_b32_e64 v12, -v12, v12, s12
	v_cmp_gt_i32_e64 s13, 32, v46
	s_waitcnt lgkmcnt(8)
	v_add_f32_e32 v14, v14, v54
	ds_bpermute_b32 v54, v3, v24
	v_cndmask_b32_e64 v22, -v22, v22, s12
	s_waitcnt lgkmcnt(8)
	v_add_f32_e32 v26, v26, v52
	v_cndmask_b32_e64 v46, v4, v46, s13
	ds_bpermute_b32 v52, v3, v41
	v_cndmask_b32_e64 v15, -v15, v15, s12
	v_cndmask_b32_e64 v10, -v10, v10, s12
	;; [unrolled: 1-line block ×3, first 2 shown]
	s_waitcnt lgkmcnt(8)
	v_add_f32_e32 v9, v9, v48
	ds_bpermute_b32 v48, v3, v18
	s_waitcnt lgkmcnt(8)
	v_add_f32_e32 v12, v12, v47
	v_cndmask_b32_e64 v19, -v19, v19, s12
	ds_bpermute_b32 v47, v3, v20
	s_waitcnt lgkmcnt(8)
	v_add_f32_e32 v22, v22, v45
	v_lshlrev_b32_e32 v45, 2, v46
	s_waitcnt lgkmcnt(7)
	v_add_f32_e32 v15, v15, v53
	ds_bpermute_b32 v53, v3, v17
	s_waitcnt lgkmcnt(7)
	v_add_f32_e32 v10, v10, v50
	s_waitcnt lgkmcnt(6)
	v_add_f32_e32 v21, v21, v51
	ds_bpermute_b32 v50, v3, v23
	ds_bpermute_b32 v51, v3, v29
	s_waitcnt lgkmcnt(7)
	v_add_f32_e32 v19, v19, v49
	ds_bpermute_b32 v49, v45, v28
	v_cndmask_b32_e64 v24, -v24, v24, s12
	v_and_b32_e32 v46, 8, v0
	v_cndmask_b32_e64 v41, -v41, v41, s12
	v_cndmask_b32_e64 v18, -v18, v18, s12
	v_cndmask_b32_e64 v20, -v20, v20, s12
	s_waitcnt lgkmcnt(7)
	v_add_f32_e32 v24, v24, v54
	ds_bpermute_b32 v54, v45, v5
	ds_bpermute_b32 v55, v45, v30
	v_cmp_eq_u32_e64 s13, 0, v46
	s_waitcnt lgkmcnt(8)
	v_add_f32_e32 v41, v41, v52
	ds_bpermute_b32 v52, v3, v16
	v_cndmask_b32_e64 v17, -v17, v17, s12
	s_waitcnt lgkmcnt(8)
	v_add_f32_e32 v18, v18, v48
	v_cndmask_b32_e64 v23, -v23, v23, s12
	v_cndmask_b32_e64 v29, -v29, v29, s12
	ds_bpermute_b32 v48, v45, v27
	s_waitcnt lgkmcnt(8)
	v_add_f32_e32 v20, v20, v47
	v_cndmask_b32_e64 v28, -v28, v28, s13
	ds_bpermute_b32 v46, v45, v7
	ds_bpermute_b32 v47, v45, v6
	s_waitcnt lgkmcnt(9)
	v_add_f32_e32 v17, v17, v53
	ds_bpermute_b32 v53, v45, v26
	s_waitcnt lgkmcnt(9)
	v_add_f32_e32 v23, v23, v50
	s_waitcnt lgkmcnt(8)
	v_add_f32_e32 v29, v29, v51
	ds_bpermute_b32 v50, v45, v31
	ds_bpermute_b32 v51, v45, v8
	s_waitcnt lgkmcnt(9)
	v_add_f32_e32 v28, v28, v49
	ds_bpermute_b32 v49, v45, v13
	v_cndmask_b32_e64 v5, -v5, v5, s13
	v_cndmask_b32_e64 v30, -v30, v30, s13
	;; [unrolled: 1-line block ×5, first 2 shown]
	s_waitcnt lgkmcnt(9)
	v_add_f32_e32 v5, v5, v54
	s_waitcnt lgkmcnt(8)
	v_add_f32_e32 v30, v30, v55
	v_cndmask_b32_e64 v6, -v6, v6, s13
	ds_bpermute_b32 v54, v45, v15
	ds_bpermute_b32 v55, v45, v14
	s_waitcnt lgkmcnt(9)
	v_add_f32_e32 v16, v16, v52
	ds_bpermute_b32 v52, v3, v25
	v_cndmask_b32_e64 v26, -v26, v26, s13
	s_waitcnt lgkmcnt(9)
	v_add_f32_e32 v27, v27, v48
	v_cndmask_b32_e64 v31, -v31, v31, s13
	v_cndmask_b32_e64 v8, -v8, v8, s13
	ds_bpermute_b32 v48, v45, v43
	s_waitcnt lgkmcnt(9)
	v_add_f32_e32 v46, v7, v46
	s_waitcnt lgkmcnt(8)
	v_add_f32_e32 v47, v6, v47
	v_cndmask_b32_e64 v6, -v43, v43, s13
	v_cndmask_b32_e64 v7, -v13, v13, s13
	ds_bpermute_b32 v43, v45, v11
	s_waitcnt lgkmcnt(8)
	v_add_f32_e32 v26, v26, v53
	ds_bpermute_b32 v53, v45, v41
	s_waitcnt lgkmcnt(8)
	v_add_f32_e32 v31, v31, v50
	s_waitcnt lgkmcnt(7)
	v_add_f32_e32 v50, v8, v51
	v_cndmask_b32_e64 v8, -v41, v41, s13
	v_cndmask_b32_e64 v13, -v15, v15, s13
	ds_bpermute_b32 v15, v45, v44
	ds_bpermute_b32 v41, v45, v9
	s_waitcnt lgkmcnt(8)
	v_add_f32_e32 v49, v7, v49
	v_cndmask_b32_e64 v7, -v9, v9, s13
	ds_bpermute_b32 v9, v45, v12
	v_cndmask_b32_e64 v14, -v14, v14, s13
	ds_bpermute_b32 v51, v45, v10
	v_cndmask_b32_e64 v25, -v25, v25, s12
	s_waitcnt lgkmcnt(9)
	v_add_f32_e32 v54, v13, v54
	ds_bpermute_b32 v13, v45, v16
	s_waitcnt lgkmcnt(9)
	v_add_f32_e32 v55, v14, v55
	ds_bpermute_b32 v14, v45, v17
	v_cndmask_b32_e64 v11, -v11, v11, s13
	s_waitcnt lgkmcnt(9)
	v_add_f32_e32 v25, v25, v52
	ds_bpermute_b32 v52, v45, v32
	s_waitcnt lgkmcnt(9)
	v_add_f32_e32 v48, v6, v48
	v_cndmask_b32_e64 v6, -v44, v44, s13
	s_waitcnt lgkmcnt(8)
	v_add_f32_e32 v43, v11, v43
	v_cndmask_b32_e64 v11, -v12, v12, s13
	s_waitcnt lgkmcnt(7)
	v_add_f32_e32 v53, v8, v53
	ds_bpermute_b32 v8, v45, v42
	ds_bpermute_b32 v44, v45, v24
	v_cndmask_b32_e64 v10, -v10, v10, s13
	s_waitcnt lgkmcnt(8)
	v_add_f32_e32 v56, v6, v15
	v_cndmask_b32_e64 v6, -v42, v42, s13
	s_waitcnt lgkmcnt(6)
	v_add_f32_e32 v42, v11, v9
	v_xor_b32_e32 v9, 16, v4
	v_add_f32_e32 v41, v7, v41
	s_waitcnt lgkmcnt(5)
	v_add_f32_e32 v51, v10, v51
	ds_bpermute_b32 v7, v45, v22
	ds_bpermute_b32 v10, v45, v18
	v_cndmask_b32_e64 v12, -v16, v16, s13
	v_cndmask_b32_e64 v15, -v17, v17, s13
	v_cmp_gt_i32_e64 s14, 32, v9
	v_cndmask_b32_e64 v32, -v32, v32, s13
	ds_bpermute_b32 v11, v45, v20
	s_waitcnt lgkmcnt(7)
	v_add_f32_e32 v57, v12, v13
	s_waitcnt lgkmcnt(6)
	v_add_f32_e32 v58, v15, v14
	ds_bpermute_b32 v13, v45, v23
	ds_bpermute_b32 v14, v45, v29
	v_cndmask_b32_e64 v4, v4, v9, s14
	s_waitcnt lgkmcnt(7)
	v_add_f32_e32 v32, v32, v52
	ds_bpermute_b32 v52, v45, v21
	v_cndmask_b32_e64 v16, -v24, v24, s13
	s_waitcnt lgkmcnt(7)
	v_add_f32_e32 v24, v6, v8
	v_lshlrev_b32_e32 v4, 2, v4
	v_cndmask_b32_e64 v6, -v22, v22, s13
	ds_bpermute_b32 v8, v45, v19
	s_waitcnt lgkmcnt(7)
	v_add_f32_e32 v44, v16, v44
	v_cndmask_b32_e64 v12, -v18, v18, s13
	ds_bpermute_b32 v16, v4, v27
	ds_bpermute_b32 v18, v4, v26
	s_waitcnt lgkmcnt(8)
	v_add_f32_e32 v59, v6, v7
	v_cndmask_b32_e64 v6, -v19, v19, s13
	s_waitcnt lgkmcnt(7)
	v_add_f32_e32 v60, v12, v10
	v_cndmask_b32_e64 v7, -v20, v20, s13
	v_cndmask_b32_e64 v9, -v23, v23, s13
	;; [unrolled: 1-line block ×3, first 2 shown]
	ds_bpermute_b32 v12, v45, v25
	v_and_b32_e32 v15, 16, v0
	ds_bpermute_b32 v17, v4, v28
	ds_bpermute_b32 v19, v4, v5
	v_cndmask_b32_e64 v21, -v21, v21, s13
	s_waitcnt lgkmcnt(9)
	v_add_f32_e32 v45, v7, v11
	v_cmp_eq_u32_e64 s14, 0, v15
	s_waitcnt lgkmcnt(8)
	v_add_f32_e32 v61, v9, v13
	s_waitcnt lgkmcnt(7)
	v_add_f32_e32 v62, v10, v14
	ds_bpermute_b32 v11, v4, v30
	ds_bpermute_b32 v13, v4, v46
	;; [unrolled: 1-line block ×5, first 2 shown]
	s_waitcnt lgkmcnt(11)
	v_add_f32_e32 v52, v21, v52
	v_cndmask_b32_e64 v7, -v27, v27, s14
	v_cndmask_b32_e64 v9, -v26, v26, s14
	ds_bpermute_b32 v21, v4, v49
	ds_bpermute_b32 v22, v4, v53
	s_waitcnt lgkmcnt(12)
	v_add_f32_e32 v29, v6, v8
	v_cndmask_b32_e64 v6, -v25, v25, s13
	v_cndmask_b32_e64 v8, -v28, v28, s14
	;; [unrolled: 1-line block ×3, first 2 shown]
	s_waitcnt lgkmcnt(11)
	v_add_f32_e32 v5, v7, v16
	s_waitcnt lgkmcnt(10)
	v_add_f32_e32 v7, v9, v18
	ds_bpermute_b32 v18, v4, v32
	ds_bpermute_b32 v23, v4, v54
	s_waitcnt lgkmcnt(11)
	v_add_f32_e32 v63, v6, v12
	s_waitcnt lgkmcnt(10)
	v_add_f32_e32 v6, v8, v17
	;; [unrolled: 2-line block ×3, first 2 shown]
	v_cndmask_b32_e64 v9, -v30, v30, s14
	v_cndmask_b32_e64 v10, -v46, v46, s14
	v_cndmask_b32_e64 v12, -v47, v47, s14
	v_cndmask_b32_e64 v16, -v31, v31, s14
	v_cndmask_b32_e64 v17, -v50, v50, s14
	ds_bpermute_b32 v19, v4, v48
	ds_bpermute_b32 v27, v4, v41
	;; [unrolled: 1-line block ×3, first 2 shown]
	s_waitcnt lgkmcnt(11)
	v_add_f32_e32 v9, v9, v11
	s_waitcnt lgkmcnt(10)
	v_add_f32_e32 v10, v10, v13
	;; [unrolled: 2-line block ×5, first 2 shown]
	v_cndmask_b32_e64 v16, -v49, v49, s14
	v_cndmask_b32_e64 v17, -v53, v53, s14
	ds_bpermute_b32 v25, v4, v55
	ds_bpermute_b32 v26, v4, v56
	;; [unrolled: 1-line block ×3, first 2 shown]
	v_cndmask_b32_e64 v14, -v32, v32, s14
	v_cndmask_b32_e64 v20, -v54, v54, s14
	s_waitcnt lgkmcnt(9)
	v_add_f32_e32 v16, v16, v21
	s_waitcnt lgkmcnt(8)
	v_add_f32_e32 v17, v17, v22
	v_cndmask_b32_e64 v21, -v41, v41, s14
	v_cndmask_b32_e64 v22, -v43, v43, s14
	ds_bpermute_b32 v31, v4, v52
	ds_bpermute_b32 v32, v4, v24
	;; [unrolled: 1-line block ×4, first 2 shown]
	v_cndmask_b32_e64 v15, -v48, v48, s14
	s_waitcnt lgkmcnt(11)
	v_add_f32_e32 v14, v14, v18
	s_waitcnt lgkmcnt(10)
	v_add_f32_e32 v18, v20, v23
	v_cndmask_b32_e64 v23, -v51, v51, s14
	ds_bpermute_b32 v46, v4, v58
	s_waitcnt lgkmcnt(10)
	v_add_f32_e32 v15, v15, v19
	v_cndmask_b32_e64 v19, -v55, v55, s14
	v_cndmask_b32_e64 v20, -v56, v56, s14
	s_waitcnt lgkmcnt(9)
	v_add_f32_e32 v21, v21, v27
	s_waitcnt lgkmcnt(8)
	v_add_f32_e32 v23, v23, v30
	v_cndmask_b32_e64 v27, -v42, v42, s14
	ds_bpermute_b32 v30, v4, v44
	ds_bpermute_b32 v42, v4, v59
	;; [unrolled: 1-line block ×5, first 2 shown]
	s_waitcnt lgkmcnt(12)
	v_add_f32_e32 v19, v19, v25
	s_waitcnt lgkmcnt(11)
	v_add_f32_e32 v20, v20, v26
	;; [unrolled: 2-line block ×3, first 2 shown]
	v_cndmask_b32_e64 v25, -v52, v52, s14
	v_cndmask_b32_e64 v26, -v24, v24, s14
	;; [unrolled: 1-line block ×5, first 2 shown]
	s_waitcnt lgkmcnt(9)
	v_add_f32_e32 v24, v25, v31
	s_waitcnt lgkmcnt(8)
	v_add_f32_e32 v25, v26, v32
	;; [unrolled: 2-line block ×4, first 2 shown]
	v_cndmask_b32_e64 v31, -v44, v44, s14
	ds_bpermute_b32 v43, v4, v61
	ds_bpermute_b32 v44, v4, v62
	;; [unrolled: 1-line block ×3, first 2 shown]
	s_waitcnt lgkmcnt(8)
	v_add_f32_e32 v28, v50, v46
	v_cndmask_b32_e64 v32, -v59, v59, s14
	v_cndmask_b32_e64 v41, -v60, v60, s14
	;; [unrolled: 1-line block ×3, first 2 shown]
	s_waitcnt lgkmcnt(7)
	v_add_f32_e32 v29, v31, v30
	s_waitcnt lgkmcnt(0)
	v_add_f32_e32 v30, v32, v42
	v_add_f32_e32 v31, v41, v47
	;; [unrolled: 1-line block ×4, first 2 shown]
	v_lshrrev_b32_e32 v42, 5, v0
	v_and_b32_e32 v45, 7, v0
	v_lshrrev_b32_e32 v46, 3, v0
	v_cndmask_b32_e64 v47, -v61, v61, s14
	v_cndmask_b32_e64 v48, -v62, v62, s14
	;; [unrolled: 1-line block ×3, first 2 shown]
	v_xor_b32_e32 v0, v42, v0
	v_lshl_or_b32 v46, v45, 5, v46
	v_add_f32_e32 v42, v47, v43
	v_add_f32_e32 v43, v48, v44
	;; [unrolled: 1-line block ×3, first 2 shown]
	v_lshl_add_u32 v4, v0, 4, 0
	v_xor_b32_e32 v0, v46, v45
	s_barrier
	buffer_gl0_inv
	ds_write_b128 v4, v[5:8]
	ds_write_b128 v4, v[9:12] offset:4096
	ds_write_b128 v4, v[13:16] offset:8192
	;; [unrolled: 1-line block ×6, first 2 shown]
	v_lshl_add_u32 v0, v0, 4, 0
	ds_write_b128 v4, v[41:44] offset:28672
	s_waitcnt lgkmcnt(0)
	s_barrier
	buffer_gl0_inv
	ds_read_b128 v[5:8], v0
	ds_read_b128 v[9:12], v0 offset:4096
	ds_read_b128 v[13:16], v0 offset:8192
	;; [unrolled: 1-line block ×7, first 2 shown]
	s_waitcnt lgkmcnt(0)
	s_barrier
	buffer_gl0_inv
	ds_bpermute_b32 v45, v1, v5
	ds_bpermute_b32 v46, v1, v6
	ds_bpermute_b32 v47, v1, v7
	v_cndmask_b32_e64 v5, -v5, v5, s10
	v_cndmask_b32_e64 v6, -v6, v6, s10
	;; [unrolled: 1-line block ×3, first 2 shown]
	ds_bpermute_b32 v48, v1, v8
	ds_bpermute_b32 v49, v1, v9
	;; [unrolled: 1-line block ×7, first 2 shown]
	v_cndmask_b32_e64 v8, -v8, v8, s10
	v_cndmask_b32_e64 v9, -v9, v9, s10
	;; [unrolled: 1-line block ×7, first 2 shown]
	s_waitcnt lgkmcnt(9)
	v_add_f32_e32 v5, v5, v45
	ds_bpermute_b32 v45, v1, v11
	s_waitcnt lgkmcnt(9)
	v_add_f32_e32 v6, v6, v46
	s_waitcnt lgkmcnt(8)
	v_add_f32_e32 v7, v7, v47
	ds_bpermute_b32 v46, v1, v16
	ds_bpermute_b32 v47, v1, v17
	v_cndmask_b32_e64 v11, -v11, v11, s10
	v_cndmask_b32_e64 v16, -v16, v16, s10
	;; [unrolled: 1-line block ×3, first 2 shown]
	s_waitcnt lgkmcnt(9)
	v_add_f32_e32 v8, v8, v48
	s_waitcnt lgkmcnt(8)
	v_add_f32_e32 v9, v9, v49
	s_waitcnt lgkmcnt(7)
	v_add_f32_e32 v10, v10, v50
	ds_bpermute_b32 v48, v1, v18
	ds_bpermute_b32 v49, v1, v19
	;; [unrolled: 1-line block ×3, first 2 shown]
	s_waitcnt lgkmcnt(9)
	v_add_f32_e32 v12, v12, v51
	s_waitcnt lgkmcnt(8)
	v_add_f32_e32 v13, v13, v52
	ds_bpermute_b32 v51, v1, v22
	ds_bpermute_b32 v52, v1, v23
	s_waitcnt lgkmcnt(9)
	v_add_f32_e32 v14, v14, v53
	s_waitcnt lgkmcnt(8)
	v_add_f32_e32 v15, v15, v54
	;; [unrolled: 2-line block ×3, first 2 shown]
	ds_bpermute_b32 v45, v1, v21
	ds_bpermute_b32 v53, v1, v24
	;; [unrolled: 1-line block ×3, first 2 shown]
	s_waitcnt lgkmcnt(9)
	v_add_f32_e32 v16, v16, v46
	s_waitcnt lgkmcnt(8)
	v_add_f32_e32 v17, v17, v47
	ds_bpermute_b32 v46, v1, v26
	ds_bpermute_b32 v47, v1, v27
	v_cndmask_b32_e64 v21, -v21, v21, s10
	v_cndmask_b32_e64 v18, -v18, v18, s10
	;; [unrolled: 1-line block ×10, first 2 shown]
	s_waitcnt lgkmcnt(9)
	v_add_f32_e32 v18, v18, v48
	s_waitcnt lgkmcnt(8)
	v_add_f32_e32 v19, v19, v49
	;; [unrolled: 2-line block ×4, first 2 shown]
	ds_bpermute_b32 v45, v1, v31
	ds_bpermute_b32 v48, v1, v28
	;; [unrolled: 1-line block ×4, first 2 shown]
	v_add_f32_e32 v22, v22, v51
	v_add_f32_e32 v23, v23, v52
	ds_bpermute_b32 v51, v1, v32
	ds_bpermute_b32 v52, v1, v41
	s_waitcnt lgkmcnt(9)
	v_add_f32_e32 v24, v24, v53
	s_waitcnt lgkmcnt(8)
	v_add_f32_e32 v25, v25, v54
	ds_bpermute_b32 v53, v1, v42
	ds_bpermute_b32 v54, v1, v43
	s_waitcnt lgkmcnt(9)
	v_add_f32_e32 v26, v26, v46
	s_waitcnt lgkmcnt(8)
	v_add_f32_e32 v27, v27, v47
	ds_bpermute_b32 v1, v1, v44
	ds_bpermute_b32 v46, v2, v5
	;; [unrolled: 1-line block ×3, first 2 shown]
	v_cndmask_b32_e64 v31, -v31, v31, s10
	v_cndmask_b32_e64 v28, -v28, v28, s10
	;; [unrolled: 1-line block ×6, first 2 shown]
	s_waitcnt lgkmcnt(10)
	v_add_f32_e32 v31, v31, v45
	v_cndmask_b32_e64 v44, -v44, v44, s10
	v_cndmask_b32_e64 v5, -v5, v5, s11
	;; [unrolled: 1-line block ×3, first 2 shown]
	ds_bpermute_b32 v45, v2, v9
	s_waitcnt lgkmcnt(10)
	v_add_f32_e32 v28, v28, v48
	s_waitcnt lgkmcnt(9)
	v_add_f32_e32 v29, v29, v49
	;; [unrolled: 2-line block ×3, first 2 shown]
	ds_bpermute_b32 v48, v2, v7
	ds_bpermute_b32 v49, v2, v8
	s_waitcnt lgkmcnt(9)
	v_add_f32_e32 v32, v32, v51
	s_waitcnt lgkmcnt(8)
	v_add_f32_e32 v41, v41, v52
	ds_bpermute_b32 v50, v2, v10
	ds_bpermute_b32 v51, v2, v11
	;; [unrolled: 1-line block ×3, first 2 shown]
	s_waitcnt lgkmcnt(8)
	v_add_f32_e32 v1, v44, v1
	s_waitcnt lgkmcnt(7)
	v_add_f32_e32 v5, v5, v46
	;; [unrolled: 2-line block ×3, first 2 shown]
	ds_bpermute_b32 v44, v2, v14
	ds_bpermute_b32 v46, v2, v15
	;; [unrolled: 1-line block ×3, first 2 shown]
	v_cndmask_b32_e64 v42, -v42, v42, s10
	v_cndmask_b32_e64 v9, -v9, v9, s11
	;; [unrolled: 1-line block ×5, first 2 shown]
	v_add_f32_e32 v42, v42, v53
	ds_bpermute_b32 v53, v2, v13
	v_cndmask_b32_e64 v11, -v11, v11, s11
	v_cndmask_b32_e64 v12, -v12, v12, s11
	s_waitcnt lgkmcnt(9)
	v_add_f32_e32 v9, v9, v45
	v_cndmask_b32_e64 v14, -v14, v14, s11
	v_cndmask_b32_e64 v15, -v15, v15, s11
	;; [unrolled: 1-line block ×3, first 2 shown]
	ds_bpermute_b32 v45, v2, v19
	s_waitcnt lgkmcnt(9)
	v_add_f32_e32 v7, v7, v48
	s_waitcnt lgkmcnt(8)
	v_add_f32_e32 v8, v8, v49
	ds_bpermute_b32 v48, v2, v17
	ds_bpermute_b32 v49, v2, v18
	s_waitcnt lgkmcnt(9)
	v_add_f32_e32 v10, v10, v50
	s_waitcnt lgkmcnt(8)
	v_add_f32_e32 v11, v11, v51
	;; [unrolled: 2-line block ×3, first 2 shown]
	ds_bpermute_b32 v50, v2, v20
	ds_bpermute_b32 v51, v2, v21
	;; [unrolled: 1-line block ×3, first 2 shown]
	s_waitcnt lgkmcnt(9)
	v_add_f32_e32 v14, v14, v44
	s_waitcnt lgkmcnt(8)
	v_add_f32_e32 v15, v15, v46
	;; [unrolled: 2-line block ×3, first 2 shown]
	ds_bpermute_b32 v44, v2, v24
	ds_bpermute_b32 v46, v2, v25
	;; [unrolled: 1-line block ×3, first 2 shown]
	v_cndmask_b32_e64 v13, -v13, v13, s11
	v_cndmask_b32_e64 v43, -v43, v43, s10
	;; [unrolled: 1-line block ×5, first 2 shown]
	s_waitcnt lgkmcnt(9)
	v_add_f32_e32 v13, v13, v53
	ds_bpermute_b32 v53, v2, v23
	v_cndmask_b32_e64 v20, -v20, v20, s11
	v_cndmask_b32_e64 v21, -v21, v21, s11
	;; [unrolled: 1-line block ×3, first 2 shown]
	v_add_f32_e32 v43, v43, v54
	s_waitcnt lgkmcnt(9)
	v_add_f32_e32 v19, v19, v45
	v_cndmask_b32_e64 v24, -v24, v24, s11
	v_cndmask_b32_e64 v25, -v25, v25, s11
	;; [unrolled: 1-line block ×3, first 2 shown]
	ds_bpermute_b32 v45, v2, v29
	s_waitcnt lgkmcnt(9)
	v_add_f32_e32 v17, v17, v48
	s_waitcnt lgkmcnt(8)
	v_add_f32_e32 v18, v18, v49
	ds_bpermute_b32 v48, v2, v27
	ds_bpermute_b32 v49, v2, v28
	s_waitcnt lgkmcnt(9)
	v_add_f32_e32 v20, v20, v50
	s_waitcnt lgkmcnt(8)
	v_add_f32_e32 v21, v21, v51
	;; [unrolled: 2-line block ×3, first 2 shown]
	ds_bpermute_b32 v50, v2, v30
	ds_bpermute_b32 v51, v2, v31
	;; [unrolled: 1-line block ×3, first 2 shown]
	s_waitcnt lgkmcnt(9)
	v_add_f32_e32 v24, v24, v44
	s_waitcnt lgkmcnt(8)
	v_add_f32_e32 v25, v25, v46
	;; [unrolled: 2-line block ×3, first 2 shown]
	ds_bpermute_b32 v44, v2, v42
	ds_bpermute_b32 v46, v2, v43
	;; [unrolled: 1-line block ×3, first 2 shown]
	v_cndmask_b32_e64 v23, -v23, v23, s11
	v_cndmask_b32_e64 v29, -v29, v29, s11
	;; [unrolled: 1-line block ×5, first 2 shown]
	s_waitcnt lgkmcnt(9)
	v_add_f32_e32 v23, v23, v53
	ds_bpermute_b32 v53, v2, v41
	ds_bpermute_b32 v2, v2, v1
	v_cndmask_b32_e64 v31, -v31, v31, s11
	v_cndmask_b32_e64 v32, -v32, v32, s11
	s_waitcnt lgkmcnt(10)
	v_add_f32_e32 v29, v29, v45
	v_cndmask_b32_e64 v42, -v42, v42, s11
	v_cndmask_b32_e64 v43, -v43, v43, s11
	;; [unrolled: 1-line block ×3, first 2 shown]
	ds_bpermute_b32 v45, v3, v7
	s_waitcnt lgkmcnt(10)
	v_add_f32_e32 v27, v27, v48
	s_waitcnt lgkmcnt(9)
	v_add_f32_e32 v28, v28, v49
	ds_bpermute_b32 v48, v3, v6
	s_waitcnt lgkmcnt(9)
	v_add_f32_e32 v30, v30, v50
	s_waitcnt lgkmcnt(8)
	v_add_f32_e32 v31, v31, v51
	;; [unrolled: 2-line block ×3, first 2 shown]
	ds_bpermute_b32 v49, v3, v8
	ds_bpermute_b32 v50, v3, v9
	;; [unrolled: 1-line block ×4, first 2 shown]
	s_waitcnt lgkmcnt(10)
	v_add_f32_e32 v42, v42, v44
	s_waitcnt lgkmcnt(9)
	v_add_f32_e32 v43, v43, v46
	;; [unrolled: 2-line block ×3, first 2 shown]
	ds_bpermute_b32 v44, v3, v12
	ds_bpermute_b32 v46, v3, v13
	;; [unrolled: 1-line block ×3, first 2 shown]
	v_cndmask_b32_e64 v1, -v1, v1, s11
	v_cndmask_b32_e64 v41, -v41, v41, s11
	v_cndmask_b32_e64 v6, -v6, v6, s12
	v_cndmask_b32_e64 v8, -v8, v8, s12
	v_cndmask_b32_e64 v9, -v9, v9, s12
	s_waitcnt lgkmcnt(9)
	v_add_f32_e32 v1, v1, v2
	v_cndmask_b32_e64 v2, -v7, v7, s12
	v_cndmask_b32_e64 v10, -v10, v10, s12
	;; [unrolled: 1-line block ×5, first 2 shown]
	s_waitcnt lgkmcnt(8)
	v_add_f32_e32 v7, v2, v45
	v_cndmask_b32_e64 v2, -v12, v12, s12
	ds_bpermute_b32 v45, v3, v17
	v_add_f32_e32 v41, v41, v53
	s_waitcnt lgkmcnt(8)
	v_add_f32_e32 v6, v6, v48
	ds_bpermute_b32 v48, v3, v15
	ds_bpermute_b32 v53, v3, v16
	s_waitcnt lgkmcnt(9)
	v_add_f32_e32 v8, v8, v49
	s_waitcnt lgkmcnt(8)
	v_add_f32_e32 v9, v9, v50
	;; [unrolled: 2-line block ×4, first 2 shown]
	ds_bpermute_b32 v49, v3, v18
	ds_bpermute_b32 v50, v3, v19
	;; [unrolled: 1-line block ×4, first 2 shown]
	s_waitcnt lgkmcnt(9)
	v_add_f32_e32 v12, v2, v44
	s_waitcnt lgkmcnt(8)
	v_add_f32_e32 v13, v13, v46
	;; [unrolled: 2-line block ×3, first 2 shown]
	ds_bpermute_b32 v44, v3, v22
	ds_bpermute_b32 v46, v3, v23
	;; [unrolled: 1-line block ×3, first 2 shown]
	v_cndmask_b32_e64 v2, -v17, v17, s12
	v_cndmask_b32_e64 v15, -v15, v15, s12
	;; [unrolled: 1-line block ×7, first 2 shown]
	s_waitcnt lgkmcnt(9)
	v_add_f32_e32 v17, v2, v45
	v_cndmask_b32_e64 v2, -v22, v22, s12
	v_cndmask_b32_e64 v23, -v23, v23, s12
	;; [unrolled: 1-line block ×3, first 2 shown]
	s_waitcnt lgkmcnt(8)
	v_add_f32_e32 v15, v15, v48
	s_waitcnt lgkmcnt(7)
	v_add_f32_e32 v16, v16, v53
	ds_bpermute_b32 v48, v3, v25
	ds_bpermute_b32 v53, v3, v26
	s_waitcnt lgkmcnt(8)
	v_add_f32_e32 v18, v18, v49
	s_waitcnt lgkmcnt(7)
	v_add_f32_e32 v19, v19, v50
	;; [unrolled: 2-line block ×4, first 2 shown]
	ds_bpermute_b32 v45, v3, v27
	ds_bpermute_b32 v49, v3, v28
	;; [unrolled: 1-line block ×5, first 2 shown]
	s_waitcnt lgkmcnt(9)
	v_add_f32_e32 v22, v2, v44
	s_waitcnt lgkmcnt(8)
	v_add_f32_e32 v23, v23, v46
	;; [unrolled: 2-line block ×3, first 2 shown]
	ds_bpermute_b32 v2, v3, v32
	ds_bpermute_b32 v44, v3, v41
	;; [unrolled: 1-line block ×5, first 2 shown]
	v_cndmask_b32_e64 v25, -v25, v25, s12
	v_cndmask_b32_e64 v26, -v26, v26, s12
	;; [unrolled: 1-line block ×12, first 2 shown]
	s_waitcnt lgkmcnt(11)
	v_add_f32_e32 v25, v25, v48
	s_waitcnt lgkmcnt(10)
	v_add_f32_e32 v26, v26, v53
	;; [unrolled: 2-line block ×12, first 2 shown]
	ds_write_b128 v0, v[5:8]
	ds_write_b128 v0, v[9:12] offset:4096
	ds_write_b128 v0, v[13:16] offset:8192
	;; [unrolled: 1-line block ×7, first 2 shown]
	s_waitcnt lgkmcnt(0)
	s_barrier
	buffer_gl0_inv
	ds_read_b128 v[24:27], v4
	ds_read_b128 v[28:31], v4 offset:4096
	ds_read_b128 v[16:19], v4 offset:8192
	;; [unrolled: 1-line block ×7, first 2 shown]
	s_load_dword s10, s[4:5], 0x20
	s_mul_i32 s4, s22, s15
	s_mul_hi_u32 s5, s22, s6
	s_add_i32 s4, s5, s4
	s_mul_i32 s5, s23, s6
	s_add_i32 s5, s4, s5
	s_mul_i32 s4, s22, s6
	s_lshl_b64 s[4:5], s[4:5], 2
	s_add_u32 s4, s18, s4
	s_waitcnt lgkmcnt(0)
	v_add_f32_e32 v48, v24, v28
	v_add_f32_e32 v49, v25, v29
	;; [unrolled: 1-line block ×24, first 2 shown]
	s_addc_u32 s5, s19, s5
	s_and_saveexec_b32 s6, s2
	s_cbranch_execz .LBB10_18
; %bb.17:
	v_add_f32_e32 v64, v43, v47
	v_add_f32_e32 v65, v42, v46
	;; [unrolled: 1-line block ×4, first 2 shown]
	v_mul_f32_e32 v67, s10, v64
	v_mul_f32_e32 v66, s10, v65
	;; [unrolled: 1-line block ×4, first 2 shown]
	global_store_dwordx4 v35, v[64:67], s[4:5]
.LBB10_18:
	s_or_b32 exec_lo, exec_lo, s6
	v_sub_f32_e32 v24, v24, v28
	v_sub_f32_e32 v25, v25, v29
	;; [unrolled: 1-line block ×16, first 2 shown]
	v_add_f32_e32 v0, v24, v16
	v_add_f32_e32 v1, v25, v17
	;; [unrolled: 1-line block ×8, first 2 shown]
	s_and_saveexec_b32 s2, vcc_lo
	s_cbranch_execz .LBB10_20
; %bb.19:
	v_add_f32_e32 v8, v0, v4
	v_add_f32_e32 v9, v1, v5
	;; [unrolled: 1-line block ×4, first 2 shown]
	v_mul_f32_e32 v8, s10, v8
	v_mul_f32_e32 v9, s10, v9
	;; [unrolled: 1-line block ×4, first 2 shown]
	global_store_dwordx4 v33, v[8:11], s[4:5]
.LBB10_20:
	s_or_b32 exec_lo, exec_lo, s2
	v_sub_f32_e32 v8, v48, v52
	v_sub_f32_e32 v9, v49, v53
	;; [unrolled: 1-line block ×8, first 2 shown]
	s_and_saveexec_b32 s2, s0
	s_cbranch_execz .LBB10_22
; %bb.21:
	v_add_f32_e32 v33, v8, v12
	v_add_f32_e32 v35, v9, v13
	;; [unrolled: 1-line block ×4, first 2 shown]
	v_mul_f32_e32 v48, s10, v33
	v_mul_f32_e32 v49, s10, v35
	;; [unrolled: 1-line block ×4, first 2 shown]
	global_store_dwordx4 v34, v[48:51], s[4:5]
.LBB10_22:
	s_or_b32 exec_lo, exec_lo, s2
	v_sub_f32_e32 v16, v24, v16
	v_sub_f32_e32 v17, v25, v17
	;; [unrolled: 1-line block ×8, first 2 shown]
	s_and_saveexec_b32 s0, s1
	s_cbranch_execnz .LBB10_28
; %bb.23:
	s_or_b32 exec_lo, exec_lo, s0
	s_and_saveexec_b32 s0, s3
	s_cbranch_execnz .LBB10_29
.LBB10_24:
	s_or_b32 exec_lo, exec_lo, s0
	s_and_saveexec_b32 s0, s7
	s_cbranch_execnz .LBB10_30
.LBB10_25:
	s_or_b32 exec_lo, exec_lo, s0
	s_and_saveexec_b32 s0, s8
	s_cbranch_execnz .LBB10_31
.LBB10_26:
	s_or_b32 exec_lo, exec_lo, s0
	s_and_saveexec_b32 s0, s9
	s_cbranch_execnz .LBB10_32
.LBB10_27:
	s_endpgm
.LBB10_28:
	v_add_f32_e32 v24, v16, v20
	v_add_f32_e32 v25, v17, v21
	;; [unrolled: 1-line block ×4, first 2 shown]
	v_mul_f32_e32 v24, s10, v24
	v_mul_f32_e32 v25, s10, v25
	;; [unrolled: 1-line block ×4, first 2 shown]
	global_store_dwordx4 v36, v[24:27], s[4:5]
	s_or_b32 exec_lo, exec_lo, s0
	s_and_saveexec_b32 s0, s3
	s_cbranch_execz .LBB10_24
.LBB10_29:
	v_sub_f32_e32 v24, v32, v44
	v_sub_f32_e32 v25, v41, v45
	;; [unrolled: 1-line block ×4, first 2 shown]
	v_mul_f32_e32 v24, s10, v24
	v_mul_f32_e32 v25, s10, v25
	;; [unrolled: 1-line block ×4, first 2 shown]
	global_store_dwordx4 v37, v[24:27], s[4:5]
	s_or_b32 exec_lo, exec_lo, s0
	s_and_saveexec_b32 s0, s7
	s_cbranch_execz .LBB10_25
.LBB10_30:
	v_sub_f32_e32 v0, v0, v4
	v_sub_f32_e32 v1, v1, v5
	v_sub_f32_e32 v2, v2, v6
	v_sub_f32_e32 v3, v3, v7
	v_mul_f32_e32 v0, s10, v0
	v_mul_f32_e32 v1, s10, v1
	;; [unrolled: 1-line block ×4, first 2 shown]
	global_store_dwordx4 v38, v[0:3], s[4:5]
	s_or_b32 exec_lo, exec_lo, s0
	s_and_saveexec_b32 s0, s8
	s_cbranch_execz .LBB10_26
.LBB10_31:
	v_sub_f32_e32 v0, v8, v12
	v_sub_f32_e32 v1, v9, v13
	;; [unrolled: 1-line block ×4, first 2 shown]
	v_mul_f32_e32 v0, s10, v0
	v_mul_f32_e32 v1, s10, v1
	;; [unrolled: 1-line block ×4, first 2 shown]
	global_store_dwordx4 v39, v[0:3], s[4:5]
	s_or_b32 exec_lo, exec_lo, s0
	s_and_saveexec_b32 s0, s9
	s_cbranch_execz .LBB10_27
.LBB10_32:
	v_sub_f32_e32 v0, v16, v20
	v_sub_f32_e32 v1, v17, v21
	;; [unrolled: 1-line block ×4, first 2 shown]
	v_mul_f32_e32 v0, s10, v0
	v_mul_f32_e32 v1, s10, v1
	;; [unrolled: 1-line block ×4, first 2 shown]
	global_store_dwordx4 v40, v[0:3], s[4:5]
	s_endpgm
	.section	.rodata,"a",@progbits
	.p2align	6, 0x0
	.amdhsa_kernel _Z30fast_hadamard_transform_kernelI37fast_hadamard_transform_kernel_traitsILi256ELi13EfEEv18HadamardParamsBase
		.amdhsa_group_segment_fixed_size 0
		.amdhsa_private_segment_fixed_size 0
		.amdhsa_kernarg_size 312
		.amdhsa_user_sgpr_count 6
		.amdhsa_user_sgpr_private_segment_buffer 1
		.amdhsa_user_sgpr_dispatch_ptr 0
		.amdhsa_user_sgpr_queue_ptr 0
		.amdhsa_user_sgpr_kernarg_segment_ptr 1
		.amdhsa_user_sgpr_dispatch_id 0
		.amdhsa_user_sgpr_flat_scratch_init 0
		.amdhsa_user_sgpr_private_segment_size 0
		.amdhsa_wavefront_size32 1
		.amdhsa_uses_dynamic_stack 0
		.amdhsa_system_sgpr_private_segment_wavefront_offset 0
		.amdhsa_system_sgpr_workgroup_id_x 1
		.amdhsa_system_sgpr_workgroup_id_y 0
		.amdhsa_system_sgpr_workgroup_id_z 0
		.amdhsa_system_sgpr_workgroup_info 0
		.amdhsa_system_vgpr_workitem_id 0
		.amdhsa_next_free_vgpr 70
		.amdhsa_next_free_sgpr 24
		.amdhsa_reserve_vcc 1
		.amdhsa_reserve_flat_scratch 0
		.amdhsa_float_round_mode_32 0
		.amdhsa_float_round_mode_16_64 0
		.amdhsa_float_denorm_mode_32 3
		.amdhsa_float_denorm_mode_16_64 3
		.amdhsa_dx10_clamp 1
		.amdhsa_ieee_mode 1
		.amdhsa_fp16_overflow 0
		.amdhsa_workgroup_processor_mode 1
		.amdhsa_memory_ordered 1
		.amdhsa_forward_progress 1
		.amdhsa_shared_vgpr_count 0
		.amdhsa_exception_fp_ieee_invalid_op 0
		.amdhsa_exception_fp_denorm_src 0
		.amdhsa_exception_fp_ieee_div_zero 0
		.amdhsa_exception_fp_ieee_overflow 0
		.amdhsa_exception_fp_ieee_underflow 0
		.amdhsa_exception_fp_ieee_inexact 0
		.amdhsa_exception_int_div_zero 0
	.end_amdhsa_kernel
	.section	.text._Z30fast_hadamard_transform_kernelI37fast_hadamard_transform_kernel_traitsILi256ELi13EfEEv18HadamardParamsBase,"axG",@progbits,_Z30fast_hadamard_transform_kernelI37fast_hadamard_transform_kernel_traitsILi256ELi13EfEEv18HadamardParamsBase,comdat
.Lfunc_end10:
	.size	_Z30fast_hadamard_transform_kernelI37fast_hadamard_transform_kernel_traitsILi256ELi13EfEEv18HadamardParamsBase, .Lfunc_end10-_Z30fast_hadamard_transform_kernelI37fast_hadamard_transform_kernel_traitsILi256ELi13EfEEv18HadamardParamsBase
                                        ; -- End function
	.set _Z30fast_hadamard_transform_kernelI37fast_hadamard_transform_kernel_traitsILi256ELi13EfEEv18HadamardParamsBase.num_vgpr, 70
	.set _Z30fast_hadamard_transform_kernelI37fast_hadamard_transform_kernel_traitsILi256ELi13EfEEv18HadamardParamsBase.num_agpr, 0
	.set _Z30fast_hadamard_transform_kernelI37fast_hadamard_transform_kernel_traitsILi256ELi13EfEEv18HadamardParamsBase.numbered_sgpr, 24
	.set _Z30fast_hadamard_transform_kernelI37fast_hadamard_transform_kernel_traitsILi256ELi13EfEEv18HadamardParamsBase.num_named_barrier, 0
	.set _Z30fast_hadamard_transform_kernelI37fast_hadamard_transform_kernel_traitsILi256ELi13EfEEv18HadamardParamsBase.private_seg_size, 0
	.set _Z30fast_hadamard_transform_kernelI37fast_hadamard_transform_kernel_traitsILi256ELi13EfEEv18HadamardParamsBase.uses_vcc, 1
	.set _Z30fast_hadamard_transform_kernelI37fast_hadamard_transform_kernel_traitsILi256ELi13EfEEv18HadamardParamsBase.uses_flat_scratch, 0
	.set _Z30fast_hadamard_transform_kernelI37fast_hadamard_transform_kernel_traitsILi256ELi13EfEEv18HadamardParamsBase.has_dyn_sized_stack, 0
	.set _Z30fast_hadamard_transform_kernelI37fast_hadamard_transform_kernel_traitsILi256ELi13EfEEv18HadamardParamsBase.has_recursion, 0
	.set _Z30fast_hadamard_transform_kernelI37fast_hadamard_transform_kernel_traitsILi256ELi13EfEEv18HadamardParamsBase.has_indirect_call, 0
	.section	.AMDGPU.csdata,"",@progbits
; Kernel info:
; codeLenInByte = 8160
; TotalNumSgprs: 26
; NumVgprs: 70
; ScratchSize: 0
; MemoryBound: 0
; FloatMode: 240
; IeeeMode: 1
; LDSByteSize: 0 bytes/workgroup (compile time only)
; SGPRBlocks: 0
; VGPRBlocks: 8
; NumSGPRsForWavesPerEU: 26
; NumVGPRsForWavesPerEU: 70
; Occupancy: 12
; WaveLimiterHint : 0
; COMPUTE_PGM_RSRC2:SCRATCH_EN: 0
; COMPUTE_PGM_RSRC2:USER_SGPR: 6
; COMPUTE_PGM_RSRC2:TRAP_HANDLER: 0
; COMPUTE_PGM_RSRC2:TGID_X_EN: 1
; COMPUTE_PGM_RSRC2:TGID_Y_EN: 0
; COMPUTE_PGM_RSRC2:TGID_Z_EN: 0
; COMPUTE_PGM_RSRC2:TIDIG_COMP_CNT: 0
	.section	.text._Z30fast_hadamard_transform_kernelI37fast_hadamard_transform_kernel_traitsILi256ELi14EfEEv18HadamardParamsBase,"axG",@progbits,_Z30fast_hadamard_transform_kernelI37fast_hadamard_transform_kernel_traitsILi256ELi14EfEEv18HadamardParamsBase,comdat
	.protected	_Z30fast_hadamard_transform_kernelI37fast_hadamard_transform_kernel_traitsILi256ELi14EfEEv18HadamardParamsBase ; -- Begin function _Z30fast_hadamard_transform_kernelI37fast_hadamard_transform_kernel_traitsILi256ELi14EfEEv18HadamardParamsBase
	.globl	_Z30fast_hadamard_transform_kernelI37fast_hadamard_transform_kernel_traitsILi256ELi14EfEEv18HadamardParamsBase
	.p2align	8
	.type	_Z30fast_hadamard_transform_kernelI37fast_hadamard_transform_kernel_traitsILi256ELi14EfEEv18HadamardParamsBase,@function
_Z30fast_hadamard_transform_kernelI37fast_hadamard_transform_kernel_traitsILi256ELi14EfEEv18HadamardParamsBase: ; @_Z30fast_hadamard_transform_kernelI37fast_hadamard_transform_kernel_traitsILi256ELi14EfEEv18HadamardParamsBase
; %bb.0:
	s_clause 0x3
	s_load_dwordx4 s[24:27], s[4:5], 0x10
	s_load_dword s29, s[4:5], 0x4
	s_load_dwordx4 s[20:23], s[4:5], 0x28
	s_load_dword s0, s[4:5], 0x44
	s_ashr_i32 s28, s6, 31
	v_lshlrev_b32_e32 v2, 2, v0
	v_mov_b32_e32 v1, 0
	v_mov_b32_e32 v5, 0
	;; [unrolled: 1-line block ×4, first 2 shown]
	v_lshlrev_b32_e32 v82, 4, v0
	v_mov_b32_e32 v8, 0
	s_waitcnt lgkmcnt(0)
	s_mul_hi_u32 s1, s24, s6
	s_mul_i32 s2, s24, s28
	s_mul_i32 s3, s25, s6
	s_add_i32 s1, s1, s2
	s_mul_i32 s2, s24, s6
	s_add_i32 s3, s1, s3
	v_cmp_gt_u32_e64 s12, s29, v2
	s_lshl_b64 s[2:3], s[2:3], 2
	s_add_u32 s18, s20, s2
	s_addc_u32 s19, s21, s3
	s_and_saveexec_b32 s1, s12
	s_cbranch_execz .LBB11_2
; %bb.1:
	global_load_dwordx4 v[5:8], v82, s[18:19]
.LBB11_2:
	s_or_b32 exec_lo, exec_lo, s1
	s_and_b32 s20, 0xffff, s0
	v_mov_b32_e32 v2, 0
	v_add_nc_u32_e32 v9, s20, v0
	v_mov_b32_e32 v3, 0
	v_lshlrev_b32_e32 v4, 2, v9
	v_lshlrev_b32_e32 v78, 4, v9
	v_cmp_gt_u32_e64 s8, s29, v4
	v_mov_b32_e32 v4, 0
	s_and_saveexec_b32 s0, s8
	s_cbranch_execz .LBB11_4
; %bb.3:
	global_load_dwordx4 v[1:4], v78, s[18:19]
.LBB11_4:
	s_or_b32 exec_lo, exec_lo, s0
	v_add_nc_u32_e32 v10, s20, v9
	v_mov_b32_e32 v9, 0
	v_mov_b32_e32 v13, 0
	;; [unrolled: 1-line block ×4, first 2 shown]
	v_lshlrev_b32_e32 v11, 2, v10
	v_lshlrev_b32_e32 v76, 4, v10
	v_mov_b32_e32 v16, 0
	v_cmp_gt_u32_e64 s14, s29, v11
	s_and_saveexec_b32 s0, s14
	s_cbranch_execz .LBB11_6
; %bb.5:
	global_load_dwordx4 v[13:16], v76, s[18:19]
.LBB11_6:
	s_or_b32 exec_lo, exec_lo, s0
	v_add_nc_u32_e32 v17, s20, v10
	v_mov_b32_e32 v10, 0
	v_mov_b32_e32 v11, 0
	v_lshlrev_b32_e32 v12, 2, v17
	v_lshlrev_b32_e32 v71, 4, v17
	v_cmp_gt_u32_e32 vcc_lo, s29, v12
	v_mov_b32_e32 v12, 0
	s_and_saveexec_b32 s0, vcc_lo
	s_cbranch_execz .LBB11_8
; %bb.7:
	global_load_dwordx4 v[9:12], v71, s[18:19]
.LBB11_8:
	s_or_b32 exec_lo, exec_lo, s0
	v_add_nc_u32_e32 v18, s20, v17
	v_mov_b32_e32 v17, 0
	v_mov_b32_e32 v21, 0
	v_mov_b32_e32 v22, 0
	v_mov_b32_e32 v23, 0
	v_lshlrev_b32_e32 v19, 2, v18
	v_lshlrev_b32_e32 v72, 4, v18
	v_mov_b32_e32 v24, 0
	v_cmp_gt_u32_e64 s0, s29, v19
	s_and_saveexec_b32 s1, s0
	s_cbranch_execz .LBB11_10
; %bb.9:
	global_load_dwordx4 v[21:24], v72, s[18:19]
.LBB11_10:
	s_or_b32 exec_lo, exec_lo, s1
	v_add_nc_u32_e32 v25, s20, v18
	v_mov_b32_e32 v18, 0
	v_mov_b32_e32 v19, 0
	v_lshlrev_b32_e32 v20, 2, v25
	v_lshlrev_b32_e32 v73, 4, v25
	v_cmp_gt_u32_e64 s1, s29, v20
	v_mov_b32_e32 v20, 0
	s_and_saveexec_b32 s2, s1
	s_cbranch_execz .LBB11_12
; %bb.11:
	global_load_dwordx4 v[17:20], v73, s[18:19]
.LBB11_12:
	s_or_b32 exec_lo, exec_lo, s2
	v_add_nc_u32_e32 v26, s20, v25
	v_mov_b32_e32 v25, 0
	v_mov_b32_e32 v29, 0
	v_mov_b32_e32 v30, 0
	v_mov_b32_e32 v31, 0
	v_lshlrev_b32_e32 v27, 2, v26
	v_lshlrev_b32_e32 v74, 4, v26
	v_mov_b32_e32 v32, 0
	v_cmp_gt_u32_e64 s2, s29, v27
	s_and_saveexec_b32 s3, s2
	s_cbranch_execz .LBB11_14
; %bb.13:
	global_load_dwordx4 v[29:32], v74, s[18:19]
.LBB11_14:
	s_or_b32 exec_lo, exec_lo, s3
	v_add_nc_u32_e32 v33, s20, v26
	v_mov_b32_e32 v26, 0
	v_mov_b32_e32 v27, 0
	v_lshlrev_b32_e32 v28, 2, v33
	v_lshlrev_b32_e32 v75, 4, v33
	v_cmp_gt_u32_e64 s3, s29, v28
	v_mov_b32_e32 v28, 0
	s_and_saveexec_b32 s7, s3
	;; [unrolled: 28-line block ×4, first 2 shown]
	s_cbranch_execz .LBB11_24
; %bb.23:
	global_load_dwordx4 v[41:44], v81, s[18:19]
.LBB11_24:
	s_or_b32 exec_lo, exec_lo, s13
	v_add_nc_u32_e32 v54, s20, v49
	v_mov_b32_e32 v53, 0
	v_mov_b32_e32 v49, 0
	;; [unrolled: 1-line block ×4, first 2 shown]
	v_lshlrev_b32_e32 v52, 2, v54
	v_lshlrev_b32_e32 v83, 4, v54
	v_cmp_gt_u32_e64 s13, s29, v52
	v_mov_b32_e32 v52, 0
	s_and_saveexec_b32 s15, s13
	s_cbranch_execz .LBB11_26
; %bb.25:
	global_load_dwordx4 v[49:52], v83, s[18:19]
.LBB11_26:
	s_or_b32 exec_lo, exec_lo, s15
	v_add_nc_u32_e32 v67, s20, v54
	v_mov_b32_e32 v54, 0
	v_mov_b32_e32 v55, 0
	v_lshlrev_b32_e32 v56, 2, v67
	v_cmp_gt_u32_e64 s15, s29, v56
	v_mov_b32_e32 v56, 0
	s_and_saveexec_b32 s17, s15
	s_cbranch_execz .LBB11_28
; %bb.27:
	v_mov_b32_e32 v68, 0
	v_lshlrev_b64 v[53:54], 4, v[67:68]
	v_add_co_u32 v53, s16, s18, v53
	v_add_co_ci_u32_e64 v54, null, s19, v54, s16
	global_load_dwordx4 v[53:56], v[53:54], off
.LBB11_28:
	s_or_b32 exec_lo, exec_lo, s17
	v_add_nc_u32_e32 v65, s20, v67
	v_mov_b32_e32 v57, 0
	v_mov_b32_e32 v61, 0
	v_mov_b32_e32 v62, 0
	v_mov_b32_e32 v63, 0
	v_lshlrev_b32_e32 v58, 2, v65
	v_mov_b32_e32 v64, 0
	v_cmp_gt_u32_e64 s16, s29, v58
	s_and_saveexec_b32 s21, s16
	s_cbranch_execz .LBB11_30
; %bb.29:
	v_mov_b32_e32 v66, 0
	v_lshlrev_b64 v[58:59], 4, v[65:66]
	v_add_co_u32 v58, s17, s18, v58
	v_add_co_ci_u32_e64 v59, null, s19, v59, s17
	global_load_dwordx4 v[61:64], v[58:59], off
.LBB11_30:
	s_or_b32 exec_lo, exec_lo, s21
	v_add_nc_u32_e32 v69, s20, v65
	v_mov_b32_e32 v58, 0
	v_mov_b32_e32 v59, 0
	v_lshlrev_b32_e32 v60, 2, v69
	v_cmp_gt_u32_e64 s17, s29, v60
	v_mov_b32_e32 v60, 0
	s_and_saveexec_b32 s20, s17
	s_cbranch_execz .LBB11_32
; %bb.31:
	v_mov_b32_e32 v70, 0
	v_lshlrev_b64 v[57:58], 4, v[69:70]
	v_add_co_u32 v57, s18, s18, v57
	v_add_co_ci_u32_e64 v58, null, s19, v58, s18
	global_load_dwordx4 v[57:60], v[57:58], off
.LBB11_32:
	s_or_b32 exec_lo, exec_lo, s20
	s_waitcnt vmcnt(0)
	v_add_f32_e32 v66, v5, v6
	v_sub_f32_e32 v5, v5, v6
	v_add_f32_e32 v6, v1, v2
	v_sub_f32_e32 v1, v1, v2
	;; [unrolled: 2-line block ×47, first 2 shown]
	v_mbcnt_lo_u32_b32 v4, -1, 0
	v_add_f32_e32 v68, v16, v64
	v_sub_f32_e32 v16, v16, v64
	v_add_f32_e32 v64, v5, v7
	v_sub_f32_e32 v5, v5, v7
	;; [unrolled: 2-line block ×3, first 2 shown]
	v_xor_b32_e32 v1, 1, v4
	s_load_dword s21, s[4:5], 0x20
	v_add_f32_e32 v70, v13, v15
	v_sub_f32_e32 v13, v13, v15
	v_add_f32_e32 v15, v9, v11
	v_cmp_gt_i32_e64 s4, 32, v1
	v_sub_f32_e32 v9, v9, v11
	v_add_f32_e32 v11, v21, v23
	v_sub_f32_e32 v21, v21, v23
	v_add_f32_e32 v23, v17, v19
	v_cndmask_b32_e64 v1, v4, v1, s4
	v_sub_f32_e32 v17, v17, v19
	v_add_f32_e32 v19, v29, v31
	v_sub_f32_e32 v29, v29, v31
	v_add_f32_e32 v31, v25, v27
	v_lshlrev_b32_e32 v1, 2, v1
	v_sub_f32_e32 v25, v25, v27
	v_add_f32_e32 v27, v37, v39
	v_sub_f32_e32 v37, v37, v39
	v_add_f32_e32 v39, v33, v35
	;; [unrolled: 2-line block ×3, first 2 shown]
	v_sub_f32_e32 v45, v45, v47
	v_and_b32_e32 v47, 1, v0
	ds_bpermute_b32 v84, v1, v60
	ds_bpermute_b32 v85, v1, v64
	v_add_f32_e32 v86, v41, v43
	v_sub_f32_e32 v41, v41, v43
	v_cmp_eq_u32_e64 s4, 0, v47
	v_add_f32_e32 v43, v49, v51
	v_sub_f32_e32 v47, v49, v51
	v_add_f32_e32 v49, v53, v55
	v_sub_f32_e32 v51, v53, v55
	v_cndmask_b32_e64 v55, -v60, v60, s4
	v_cndmask_b32_e64 v60, -v64, v64, s4
	ds_bpermute_b32 v64, v1, v50
	ds_bpermute_b32 v88, v1, v66
	v_add_f32_e32 v53, v61, v63
	ds_bpermute_b32 v87, v1, v5
	ds_bpermute_b32 v89, v1, v7
	v_sub_f32_e32 v61, v61, v63
	v_add_f32_e32 v63, v57, v59
	v_sub_f32_e32 v57, v57, v59
	v_cndmask_b32_e64 v50, -v50, v50, s4
	s_waitcnt lgkmcnt(0)
	v_add_f32_e32 v55, v55, v84
	v_add_f32_e32 v59, v60, v85
	ds_bpermute_b32 v84, v1, v54
	ds_bpermute_b32 v85, v1, v70
	v_cndmask_b32_e64 v60, -v66, v66, s4
	ds_bpermute_b32 v66, v1, v3
	ds_bpermute_b32 v91, v1, v2
	;; [unrolled: 1-line block ×4, first 2 shown]
	v_cndmask_b32_e64 v5, -v5, v5, s4
	v_cndmask_b32_e64 v7, -v7, v7, s4
	v_add_f32_e32 v50, v50, v64
	v_add_f32_e32 v60, v60, v88
	v_cndmask_b32_e64 v64, -v70, v70, s4
	ds_bpermute_b32 v70, v1, v62
	ds_bpermute_b32 v88, v1, v14
	v_cndmask_b32_e64 v54, -v54, v54, s4
	v_add_f32_e32 v5, v5, v87
	v_add_f32_e32 v7, v7, v89
	v_cndmask_b32_e64 v3, -v3, v3, s4
	v_cndmask_b32_e64 v2, -v2, v2, s4
	ds_bpermute_b32 v87, v1, v15
	ds_bpermute_b32 v89, v1, v9
	s_waitcnt lgkmcnt(9)
	v_add_f32_e32 v54, v54, v84
	s_waitcnt lgkmcnt(8)
	v_add_f32_e32 v64, v64, v85
	ds_bpermute_b32 v84, v1, v10
	ds_bpermute_b32 v85, v1, v21
	v_cndmask_b32_e64 v6, -v6, v6, s4
	v_cndmask_b32_e64 v13, -v13, v13, s4
	s_waitcnt lgkmcnt(9)
	v_add_f32_e32 v3, v3, v66
	s_waitcnt lgkmcnt(8)
	v_add_f32_e32 v66, v2, v91
	v_cndmask_b32_e64 v2, -v62, v62, s4
	v_cndmask_b32_e64 v14, -v14, v14, s4
	ds_bpermute_b32 v62, v1, v11
	s_waitcnt lgkmcnt(8)
	v_add_f32_e32 v6, v6, v90
	ds_bpermute_b32 v90, v1, v58
	s_waitcnt lgkmcnt(8)
	v_add_f32_e32 v13, v13, v92
	ds_bpermute_b32 v91, v1, v12
	ds_bpermute_b32 v92, v1, v23
	s_waitcnt lgkmcnt(9)
	v_add_f32_e32 v70, v2, v70
	s_waitcnt lgkmcnt(8)
	v_add_f32_e32 v14, v14, v88
	v_cndmask_b32_e64 v2, -v11, v11, s4
	v_cndmask_b32_e64 v11, -v21, v21, s4
	;; [unrolled: 1-line block ×3, first 2 shown]
	ds_bpermute_b32 v23, v1, v22
	ds_bpermute_b32 v88, v1, v24
	v_cndmask_b32_e64 v15, -v15, v15, s4
	v_cndmask_b32_e64 v9, -v9, v9, s4
	;; [unrolled: 1-line block ×3, first 2 shown]
	s_waitcnt lgkmcnt(6)
	v_add_f32_e32 v11, v11, v85
	ds_bpermute_b32 v85, v1, v31
	v_add_f32_e32 v15, v15, v87
	v_add_f32_e32 v9, v9, v89
	ds_bpermute_b32 v87, v1, v17
	ds_bpermute_b32 v89, v1, v19
	v_add_f32_e32 v10, v10, v84
	ds_bpermute_b32 v84, v1, v20
	v_cndmask_b32_e64 v58, -v58, v58, s4
	v_cndmask_b32_e64 v12, -v12, v12, s4
	s_waitcnt lgkmcnt(9)
	v_add_f32_e32 v62, v2, v62
	v_cndmask_b32_e64 v2, -v22, v22, s4
	v_cndmask_b32_e64 v22, -v24, v24, s4
	ds_bpermute_b32 v24, v1, v29
	s_waitcnt lgkmcnt(9)
	v_add_f32_e32 v58, v58, v90
	ds_bpermute_b32 v90, v1, v18
	s_waitcnt lgkmcnt(9)
	v_add_f32_e32 v12, v12, v91
	;; [unrolled: 3-line block ×3, first 2 shown]
	s_waitcnt lgkmcnt(7)
	v_add_f32_e32 v22, v22, v88
	v_cndmask_b32_e64 v2, -v29, v29, s4
	v_cndmask_b32_e64 v29, -v31, v31, s4
	ds_bpermute_b32 v31, v1, v32
	ds_bpermute_b32 v88, v1, v26
	v_cndmask_b32_e64 v17, -v17, v17, s4
	v_cndmask_b32_e64 v19, -v19, v19, s4
	;; [unrolled: 1-line block ×3, first 2 shown]
	s_waitcnt lgkmcnt(8)
	v_add_f32_e32 v29, v29, v85
	ds_bpermute_b32 v85, v1, v33
	s_waitcnt lgkmcnt(8)
	v_add_f32_e32 v17, v17, v87
	s_waitcnt lgkmcnt(7)
	v_add_f32_e32 v19, v19, v89
	ds_bpermute_b32 v87, v1, v27
	ds_bpermute_b32 v89, v1, v37
	s_waitcnt lgkmcnt(8)
	v_add_f32_e32 v20, v20, v84
	ds_bpermute_b32 v84, v1, v38
	v_cndmask_b32_e64 v18, -v18, v18, s4
	v_cndmask_b32_e64 v30, -v30, v30, s4
	s_waitcnt lgkmcnt(8)
	v_add_f32_e32 v24, v2, v24
	v_cndmask_b32_e64 v2, -v32, v32, s4
	v_cndmask_b32_e64 v26, -v26, v26, s4
	;; [unrolled: 1-line block ×3, first 2 shown]
	ds_bpermute_b32 v37, v1, v39
	v_add_f32_e32 v21, v21, v92
	ds_bpermute_b32 v92, v1, v25
	s_waitcnt lgkmcnt(9)
	v_add_f32_e32 v18, v18, v90
	ds_bpermute_b32 v90, v1, v28
	s_waitcnt lgkmcnt(9)
	v_add_f32_e32 v30, v30, v91
	ds_bpermute_b32 v91, v1, v40
	s_waitcnt lgkmcnt(9)
	v_add_f32_e32 v31, v2, v31
	s_waitcnt lgkmcnt(8)
	v_add_f32_e32 v26, v26, v88
	v_cndmask_b32_e64 v2, -v39, v39, s4
	v_cndmask_b32_e64 v39, -v40, v40, s4
	ds_bpermute_b32 v40, v1, v34
	ds_bpermute_b32 v88, v1, v36
	v_cndmask_b32_e64 v27, -v27, v27, s4
	v_cndmask_b32_e64 v38, -v38, v38, s4
	;; [unrolled: 1-line block ×3, first 2 shown]
	s_waitcnt lgkmcnt(7)
	v_add_f32_e32 v32, v32, v89
	ds_bpermute_b32 v89, v1, v86
	v_add_f32_e32 v27, v27, v87
	ds_bpermute_b32 v87, v1, v45
	s_waitcnt lgkmcnt(8)
	v_add_f32_e32 v38, v38, v84
	v_add_f32_e32 v33, v33, v85
	ds_bpermute_b32 v84, v1, v41
	ds_bpermute_b32 v85, v1, v48
	v_cndmask_b32_e64 v25, -v25, v25, s4
	v_cndmask_b32_e64 v28, -v28, v28, s4
	s_waitcnt lgkmcnt(9)
	v_add_f32_e32 v37, v2, v37
	v_cndmask_b32_e64 v2, -v34, v34, s4
	v_cndmask_b32_e64 v36, -v36, v36, s4
	s_waitcnt lgkmcnt(8)
	v_add_f32_e32 v25, v25, v92
	ds_bpermute_b32 v92, v1, v35
	s_waitcnt lgkmcnt(8)
	v_add_f32_e32 v28, v28, v90
	ds_bpermute_b32 v90, v1, v46
	s_waitcnt lgkmcnt(7)
	v_add_f32_e32 v40, v2, v40
	s_waitcnt lgkmcnt(6)
	v_add_f32_e32 v36, v36, v88
	v_cndmask_b32_e64 v2, -v41, v41, s4
	v_cndmask_b32_e64 v41, -v48, v48, s4
	ds_bpermute_b32 v48, v1, v44
	ds_bpermute_b32 v88, v1, v8
	v_cndmask_b32_e64 v34, -v45, v45, s4
	v_cndmask_b32_e64 v45, -v86, v86, s4
	ds_bpermute_b32 v86, v1, v43
	s_waitcnt lgkmcnt(6)
	v_add_f32_e32 v84, v2, v84
	s_waitcnt lgkmcnt(5)
	v_add_f32_e32 v41, v41, v85
	v_add_f32_e32 v34, v34, v87
	;; [unrolled: 1-line block ×3, first 2 shown]
	ds_bpermute_b32 v87, v1, v49
	ds_bpermute_b32 v89, v1, v51
	v_cndmask_b32_e64 v2, -v44, v44, s4
	ds_bpermute_b32 v44, v1, v53
	ds_bpermute_b32 v85, v1, v56
	v_cndmask_b32_e64 v35, -v35, v35, s4
	v_cndmask_b32_e64 v46, -v46, v46, s4
	;; [unrolled: 1-line block ×3, first 2 shown]
	v_add_f32_e32 v39, v39, v91
	ds_bpermute_b32 v91, v1, v42
	s_waitcnt lgkmcnt(9)
	v_add_f32_e32 v35, v35, v92
	ds_bpermute_b32 v92, v1, v47
	s_waitcnt lgkmcnt(9)
	v_add_f32_e32 v46, v46, v90
	ds_bpermute_b32 v90, v1, v52
	v_cndmask_b32_e64 v43, -v43, v43, s4
	s_waitcnt lgkmcnt(9)
	v_add_f32_e32 v48, v2, v48
	s_waitcnt lgkmcnt(8)
	v_add_f32_e32 v8, v8, v88
	v_xor_b32_e32 v2, 2, v4
	ds_bpermute_b32 v88, v1, v63
	s_waitcnt lgkmcnt(8)
	v_add_f32_e32 v43, v43, v86
	v_cndmask_b32_e64 v49, -v49, v49, s4
	v_cndmask_b32_e64 v51, -v51, v51, s4
	;; [unrolled: 1-line block ×3, first 2 shown]
	ds_bpermute_b32 v86, v1, v61
	v_cndmask_b32_e64 v56, -v56, v56, s4
	v_cmp_gt_i32_e64 s5, 32, v2
	s_waitcnt lgkmcnt(8)
	v_add_f32_e32 v49, v49, v87
	s_waitcnt lgkmcnt(7)
	v_add_f32_e32 v51, v51, v89
	ds_bpermute_b32 v87, v1, v68
	ds_bpermute_b32 v89, v1, v16
	v_cndmask_b32_e64 v2, v4, v2, s5
	s_waitcnt lgkmcnt(8)
	v_add_f32_e32 v44, v53, v44
	s_waitcnt lgkmcnt(7)
	v_add_f32_e32 v53, v56, v85
	v_cndmask_b32_e64 v56, -v61, v61, s4
	v_cndmask_b32_e64 v61, -v68, v68, s4
	ds_bpermute_b32 v68, v1, v57
	v_cndmask_b32_e64 v42, -v42, v42, s4
	v_cndmask_b32_e64 v47, -v47, v47, s4
	;; [unrolled: 1-line block ×3, first 2 shown]
	v_lshlrev_b32_e32 v2, 2, v2
	v_cndmask_b32_e64 v63, -v63, v63, s4
	v_and_b32_e32 v85, 2, v0
	s_waitcnt lgkmcnt(7)
	v_add_f32_e32 v42, v42, v91
	s_waitcnt lgkmcnt(6)
	v_add_f32_e32 v47, v47, v92
	;; [unrolled: 2-line block ×3, first 2 shown]
	ds_bpermute_b32 v90, v2, v55
	ds_bpermute_b32 v91, v2, v59
	ds_bpermute_b32 v92, v2, v50
	v_cmp_eq_u32_e64 s5, 0, v85
	s_waitcnt lgkmcnt(7)
	v_add_f32_e32 v63, v63, v88
	ds_bpermute_b32 v85, v2, v60
	ds_bpermute_b32 v88, v2, v3
	v_cndmask_b32_e64 v16, -v16, v16, s4
	s_waitcnt lgkmcnt(8)
	v_add_f32_e32 v56, v56, v86
	v_cndmask_b32_e64 v57, -v57, v57, s4
	ds_bpermute_b32 v86, v2, v7
	s_waitcnt lgkmcnt(8)
	v_add_f32_e32 v61, v61, v87
	s_waitcnt lgkmcnt(7)
	v_add_f32_e32 v16, v16, v89
	ds_bpermute_b32 v87, v2, v6
	ds_bpermute_b32 v89, v2, v54
	s_waitcnt lgkmcnt(8)
	v_add_f32_e32 v57, v57, v68
	ds_bpermute_b32 v68, v2, v64
	v_cndmask_b32_e64 v55, -v55, v55, s5
	v_cndmask_b32_e64 v59, -v59, v59, s5
	;; [unrolled: 1-line block ×5, first 2 shown]
	s_waitcnt lgkmcnt(8)
	v_add_f32_e32 v55, v55, v90
	s_waitcnt lgkmcnt(7)
	v_add_f32_e32 v59, v59, v91
	;; [unrolled: 2-line block ×3, first 2 shown]
	v_cndmask_b32_e64 v7, -v7, v7, s5
	ds_bpermute_b32 v90, v2, v66
	ds_bpermute_b32 v91, v2, v13
	;; [unrolled: 1-line block ×3, first 2 shown]
	s_waitcnt lgkmcnt(8)
	v_add_f32_e32 v60, v60, v85
	s_waitcnt lgkmcnt(7)
	v_add_f32_e32 v85, v3, v88
	v_cndmask_b32_e64 v3, -v64, v64, s5
	v_cndmask_b32_e64 v64, -v66, v66, s5
	;; [unrolled: 1-line block ×3, first 2 shown]
	ds_bpermute_b32 v70, v2, v14
	v_cndmask_b32_e64 v6, -v6, v6, s5
	v_cndmask_b32_e64 v54, -v54, v54, s5
	s_waitcnt lgkmcnt(7)
	v_add_f32_e32 v7, v7, v86
	ds_bpermute_b32 v86, v2, v9
	ds_bpermute_b32 v93, v2, v5
	s_waitcnt lgkmcnt(8)
	v_add_f32_e32 v6, v6, v87
	s_waitcnt lgkmcnt(7)
	v_add_f32_e32 v54, v54, v89
	ds_bpermute_b32 v87, v2, v58
	ds_bpermute_b32 v88, v2, v62
	;; [unrolled: 1-line block ×3, first 2 shown]
	s_waitcnt lgkmcnt(9)
	v_add_f32_e32 v68, v3, v68
	v_cndmask_b32_e64 v3, -v14, v14, s5
	v_cndmask_b32_e64 v14, -v58, v58, s5
	;; [unrolled: 1-line block ×3, first 2 shown]
	ds_bpermute_b32 v62, v2, v11
	v_cndmask_b32_e64 v13, -v13, v13, s5
	s_waitcnt lgkmcnt(9)
	v_add_f32_e32 v64, v64, v90
	s_waitcnt lgkmcnt(7)
	v_add_f32_e32 v66, v66, v92
	v_cndmask_b32_e64 v9, -v9, v9, s5
	ds_bpermute_b32 v90, v2, v12
	v_add_f32_e32 v13, v13, v91
	ds_bpermute_b32 v91, v2, v21
	ds_bpermute_b32 v92, v2, v23
	s_waitcnt lgkmcnt(9)
	v_add_f32_e32 v70, v3, v70
	v_cndmask_b32_e64 v3, -v11, v11, s5
	v_cndmask_b32_e64 v11, -v12, v12, s5
	;; [unrolled: 1-line block ×4, first 2 shown]
	ds_bpermute_b32 v23, v2, v22
	v_cndmask_b32_e64 v5, -v5, v5, s5
	v_cndmask_b32_e64 v10, -v10, v10, s5
	s_waitcnt lgkmcnt(9)
	v_add_f32_e32 v9, v9, v86
	ds_bpermute_b32 v86, v2, v19
	s_waitcnt lgkmcnt(8)
	v_add_f32_e32 v14, v14, v87
	v_add_f32_e32 v5, v5, v93
	ds_bpermute_b32 v93, v2, v15
	s_waitcnt lgkmcnt(8)
	v_add_f32_e32 v58, v58, v88
	s_waitcnt lgkmcnt(7)
	v_add_f32_e32 v10, v10, v89
	ds_bpermute_b32 v87, v2, v18
	ds_bpermute_b32 v88, v2, v24
	ds_bpermute_b32 v89, v2, v20
	s_waitcnt lgkmcnt(9)
	v_add_f32_e32 v62, v3, v62
	v_cndmask_b32_e64 v3, -v22, v22, s5
	v_cndmask_b32_e64 v22, -v24, v24, s5
	ds_bpermute_b32 v24, v2, v29
	s_waitcnt lgkmcnt(9)
	v_add_f32_e32 v11, v11, v90
	s_waitcnt lgkmcnt(8)
	v_add_f32_e32 v12, v12, v91
	;; [unrolled: 2-line block ×3, first 2 shown]
	v_cndmask_b32_e64 v19, -v19, v19, s5
	ds_bpermute_b32 v90, v2, v30
	ds_bpermute_b32 v91, v2, v25
	;; [unrolled: 1-line block ×3, first 2 shown]
	s_waitcnt lgkmcnt(9)
	v_add_f32_e32 v23, v3, v23
	v_cndmask_b32_e64 v3, -v29, v29, s5
	v_cndmask_b32_e64 v29, -v30, v30, s5
	v_cndmask_b32_e64 v30, -v31, v31, s5
	ds_bpermute_b32 v31, v2, v26
	v_cndmask_b32_e64 v15, -v15, v15, s5
	v_cndmask_b32_e64 v18, -v18, v18, s5
	;; [unrolled: 1-line block ×3, first 2 shown]
	s_waitcnt lgkmcnt(9)
	v_add_f32_e32 v19, v19, v86
	ds_bpermute_b32 v86, v2, v32
	s_waitcnt lgkmcnt(9)
	v_add_f32_e32 v15, v15, v93
	ds_bpermute_b32 v93, v2, v17
	s_waitcnt lgkmcnt(9)
	v_add_f32_e32 v18, v18, v87
	s_waitcnt lgkmcnt(8)
	v_add_f32_e32 v22, v22, v88
	;; [unrolled: 2-line block ×3, first 2 shown]
	ds_bpermute_b32 v87, v2, v28
	ds_bpermute_b32 v88, v2, v37
	;; [unrolled: 1-line block ×3, first 2 shown]
	s_waitcnt lgkmcnt(9)
	v_add_f32_e32 v24, v3, v24
	v_cndmask_b32_e64 v3, -v26, v26, s5
	v_cndmask_b32_e64 v26, -v32, v32, s5
	;; [unrolled: 1-line block ×4, first 2 shown]
	ds_bpermute_b32 v38, v2, v33
	v_cndmask_b32_e64 v25, -v25, v25, s5
	s_waitcnt lgkmcnt(9)
	v_add_f32_e32 v29, v29, v90
	s_waitcnt lgkmcnt(7)
	v_add_f32_e32 v30, v30, v92
	ds_bpermute_b32 v90, v2, v39
	ds_bpermute_b32 v92, v2, v40
	v_add_f32_e32 v25, v25, v91
	ds_bpermute_b32 v91, v2, v35
	s_waitcnt lgkmcnt(9)
	v_add_f32_e32 v31, v3, v31
	v_cndmask_b32_e64 v3, -v33, v33, s5
	v_cndmask_b32_e64 v33, -v39, v39, s5
	;; [unrolled: 1-line block ×3, first 2 shown]
	ds_bpermute_b32 v40, v2, v36
	v_cndmask_b32_e64 v17, -v17, v17, s5
	v_cndmask_b32_e64 v28, -v28, v28, s5
	s_waitcnt lgkmcnt(9)
	v_add_f32_e32 v26, v26, v86
	ds_bpermute_b32 v86, v2, v45
	v_cndmask_b32_e64 v35, -v35, v35, s5
	s_waitcnt lgkmcnt(9)
	v_add_f32_e32 v17, v17, v93
	ds_bpermute_b32 v93, v2, v27
	s_waitcnt lgkmcnt(9)
	v_add_f32_e32 v28, v28, v87
	ds_bpermute_b32 v87, v2, v46
	s_waitcnt lgkmcnt(7)
	v_add_f32_e32 v38, v3, v38
	v_cndmask_b32_e64 v3, -v36, v36, s5
	v_cndmask_b32_e64 v36, -v45, v45, s5
	;; [unrolled: 1-line block ×3, first 2 shown]
	ds_bpermute_b32 v46, v2, v43
	v_add_f32_e32 v32, v32, v88
	v_add_f32_e32 v37, v37, v89
	ds_bpermute_b32 v88, v2, v84
	ds_bpermute_b32 v89, v2, v41
	s_waitcnt lgkmcnt(9)
	v_add_f32_e32 v33, v33, v90
	s_waitcnt lgkmcnt(7)
	v_add_f32_e32 v35, v35, v91
	ds_bpermute_b32 v90, v2, v42
	ds_bpermute_b32 v91, v2, v47
	s_waitcnt lgkmcnt(8)
	v_add_f32_e32 v40, v3, v40
	v_cndmask_b32_e64 v3, -v43, v43, s5
	ds_bpermute_b32 v43, v2, v8
	v_cndmask_b32_e64 v27, -v27, v27, s5
	s_waitcnt lgkmcnt(8)
	v_add_f32_e32 v36, v36, v86
	ds_bpermute_b32 v86, v2, v51
	s_waitcnt lgkmcnt(7)
	v_add_f32_e32 v45, v45, v87
	ds_bpermute_b32 v87, v2, v52
	v_add_f32_e32 v27, v27, v93
	ds_bpermute_b32 v93, v2, v34
	v_cndmask_b32_e64 v84, -v84, v84, s5
	s_waitcnt lgkmcnt(8)
	v_add_f32_e32 v46, v3, v46
	v_cndmask_b32_e64 v3, -v8, v8, s5
	v_cndmask_b32_e64 v8, -v51, v51, s5
	v_xor_b32_e32 v51, 4, v4
	v_cndmask_b32_e64 v41, -v41, v41, s5
	v_cndmask_b32_e64 v42, -v42, v42, s5
	;; [unrolled: 1-line block ×3, first 2 shown]
	s_waitcnt lgkmcnt(7)
	v_add_f32_e32 v84, v84, v88
	v_cmp_gt_i32_e64 s18, 32, v51
	s_waitcnt lgkmcnt(6)
	v_add_f32_e32 v41, v41, v89
	s_waitcnt lgkmcnt(5)
	v_add_f32_e32 v42, v42, v90
	;; [unrolled: 2-line block ×3, first 2 shown]
	ds_bpermute_b32 v88, v2, v44
	ds_bpermute_b32 v89, v2, v53
	;; [unrolled: 1-line block ×4, first 2 shown]
	s_waitcnt lgkmcnt(7)
	v_add_f32_e32 v43, v3, v43
	v_cndmask_b32_e64 v3, v4, v51, s18
	v_cndmask_b32_e64 v51, -v53, v53, s5
	v_cndmask_b32_e64 v53, -v56, v56, s5
	;; [unrolled: 1-line block ×3, first 2 shown]
	ds_bpermute_b32 v61, v2, v63
	v_cndmask_b32_e64 v34, -v34, v34, s5
	v_add_f32_e32 v39, v39, v92
	ds_bpermute_b32 v92, v2, v48
	v_cndmask_b32_e64 v52, -v52, v52, s5
	s_waitcnt lgkmcnt(8)
	v_add_f32_e32 v8, v8, v86
	ds_bpermute_b32 v86, v2, v16
	s_waitcnt lgkmcnt(7)
	v_add_f32_e32 v34, v34, v93
	ds_bpermute_b32 v93, v2, v49
	v_add_f32_e32 v52, v52, v87
	ds_bpermute_b32 v87, v2, v57
	v_cndmask_b32_e64 v44, -v44, v44, s5
	v_lshlrev_b32_e32 v3, 2, v3
	v_cndmask_b32_e64 v63, -v63, v63, s5
	v_cndmask_b32_e64 v48, -v48, v48, s5
	s_waitcnt lgkmcnt(7)
	v_add_f32_e32 v51, v51, v89
	v_add_f32_e32 v44, v44, v88
	s_waitcnt lgkmcnt(5)
	v_add_f32_e32 v56, v56, v91
	v_cndmask_b32_e64 v16, -v16, v16, s5
	ds_bpermute_b32 v88, v3, v50
	ds_bpermute_b32 v89, v3, v5
	;; [unrolled: 1-line block ×3, first 2 shown]
	s_waitcnt lgkmcnt(7)
	v_add_f32_e32 v61, v63, v61
	ds_bpermute_b32 v63, v3, v85
	v_cndmask_b32_e64 v49, -v49, v49, s5
	s_waitcnt lgkmcnt(7)
	v_add_f32_e32 v48, v48, v92
	v_and_b32_e32 v92, 4, v0
	v_add_f32_e32 v53, v53, v90
	v_cndmask_b32_e64 v57, -v57, v57, s5
	ds_bpermute_b32 v90, v3, v60
	s_waitcnt lgkmcnt(7)
	v_add_f32_e32 v16, v16, v86
	ds_bpermute_b32 v86, v3, v54
	s_waitcnt lgkmcnt(7)
	v_add_f32_e32 v49, v49, v93
	ds_bpermute_b32 v93, v3, v55
	ds_bpermute_b32 v94, v3, v59
	v_cmp_eq_u32_e64 s18, 0, v92
	s_waitcnt lgkmcnt(8)
	v_add_f32_e32 v57, v57, v87
	ds_bpermute_b32 v87, v3, v68
	ds_bpermute_b32 v92, v3, v6
	s_waitcnt lgkmcnt(0)
	v_cndmask_b32_e64 v50, -v50, v50, s18
	v_cndmask_b32_e64 v5, -v5, v5, s18
	;; [unrolled: 1-line block ×5, first 2 shown]
	v_add_f32_e32 v50, v50, v88
	v_add_f32_e32 v5, v5, v89
	;; [unrolled: 1-line block ×3, first 2 shown]
	v_cndmask_b32_e64 v54, -v54, v54, s18
	ds_bpermute_b32 v88, v3, v66
	ds_bpermute_b32 v89, v3, v15
	;; [unrolled: 1-line block ×3, first 2 shown]
	v_add_f32_e32 v63, v85, v63
	ds_bpermute_b32 v85, v3, v58
	v_cndmask_b32_e64 v55, -v55, v55, s18
	v_cndmask_b32_e64 v59, -v59, v59, s18
	v_add_f32_e32 v60, v60, v90
	v_cndmask_b32_e64 v68, -v68, v68, s18
	ds_bpermute_b32 v90, v3, v70
	v_add_f32_e32 v54, v54, v86
	ds_bpermute_b32 v86, v3, v10
	v_add_f32_e32 v55, v55, v93
	v_add_f32_e32 v59, v59, v94
	ds_bpermute_b32 v93, v3, v64
	ds_bpermute_b32 v94, v3, v13
	v_add_f32_e32 v68, v68, v87
	ds_bpermute_b32 v87, v3, v62
	v_cndmask_b32_e64 v66, -v66, v66, s18
	v_cndmask_b32_e64 v15, -v15, v15, s18
	;; [unrolled: 1-line block ×5, first 2 shown]
	s_waitcnt lgkmcnt(8)
	v_add_f32_e32 v66, v66, v88
	s_waitcnt lgkmcnt(7)
	v_add_f32_e32 v15, v15, v89
	;; [unrolled: 2-line block ×3, first 2 shown]
	v_cndmask_b32_e64 v10, -v10, v10, s18
	ds_bpermute_b32 v88, v3, v21
	ds_bpermute_b32 v89, v3, v17
	;; [unrolled: 1-line block ×3, first 2 shown]
	s_waitcnt lgkmcnt(8)
	v_add_f32_e32 v58, v58, v85
	ds_bpermute_b32 v85, v3, v22
	v_cndmask_b32_e64 v64, -v64, v64, s18
	v_cndmask_b32_e64 v13, -v13, v13, s18
	s_waitcnt lgkmcnt(8)
	v_add_f32_e32 v70, v70, v90
	v_cndmask_b32_e64 v62, -v62, v62, s18
	ds_bpermute_b32 v90, v3, v23
	s_waitcnt lgkmcnt(8)
	v_add_f32_e32 v10, v10, v86
	ds_bpermute_b32 v86, v3, v20
	v_cndmask_b32_e64 v6, -v6, v6, s18
	s_waitcnt lgkmcnt(8)
	v_add_f32_e32 v64, v64, v93
	s_waitcnt lgkmcnt(7)
	v_add_f32_e32 v13, v13, v94
	ds_bpermute_b32 v93, v3, v11
	ds_bpermute_b32 v94, v3, v12
	s_waitcnt lgkmcnt(8)
	v_add_f32_e32 v62, v62, v87
	ds_bpermute_b32 v87, v3, v24
	v_add_f32_e32 v6, v6, v92
	ds_bpermute_b32 v92, v3, v14
	v_cndmask_b32_e64 v21, -v21, v21, s18
	v_cndmask_b32_e64 v17, -v17, v17, s18
	;; [unrolled: 1-line block ×5, first 2 shown]
	s_waitcnt lgkmcnt(9)
	v_add_f32_e32 v21, v21, v88
	s_waitcnt lgkmcnt(8)
	v_add_f32_e32 v17, v17, v89
	;; [unrolled: 2-line block ×3, first 2 shown]
	v_cndmask_b32_e64 v20, -v20, v20, s18
	ds_bpermute_b32 v88, v3, v30
	ds_bpermute_b32 v89, v3, v27
	;; [unrolled: 1-line block ×3, first 2 shown]
	s_waitcnt lgkmcnt(9)
	v_add_f32_e32 v22, v22, v85
	ds_bpermute_b32 v85, v3, v32
	v_cndmask_b32_e64 v11, -v11, v11, s18
	v_cndmask_b32_e64 v12, -v12, v12, s18
	s_waitcnt lgkmcnt(9)
	v_add_f32_e32 v23, v23, v90
	v_cndmask_b32_e64 v24, -v24, v24, s18
	ds_bpermute_b32 v90, v3, v31
	s_waitcnt lgkmcnt(9)
	v_add_f32_e32 v20, v20, v86
	ds_bpermute_b32 v86, v3, v37
	v_cndmask_b32_e64 v14, -v14, v14, s18
	s_waitcnt lgkmcnt(9)
	v_add_f32_e32 v11, v11, v93
	s_waitcnt lgkmcnt(8)
	v_add_f32_e32 v12, v12, v94
	ds_bpermute_b32 v93, v3, v29
	ds_bpermute_b32 v94, v3, v25
	s_waitcnt lgkmcnt(9)
	v_add_f32_e32 v24, v24, v87
	ds_bpermute_b32 v87, v3, v38
	s_waitcnt lgkmcnt(9)
	v_add_f32_e32 v14, v14, v92
	ds_bpermute_b32 v92, v3, v18
	v_cndmask_b32_e64 v30, -v30, v30, s18
	v_cndmask_b32_e64 v27, -v27, v27, s18
	;; [unrolled: 1-line block ×5, first 2 shown]
	s_waitcnt lgkmcnt(9)
	v_add_f32_e32 v30, v30, v88
	s_waitcnt lgkmcnt(8)
	v_add_f32_e32 v27, v27, v89
	;; [unrolled: 2-line block ×3, first 2 shown]
	v_cndmask_b32_e64 v37, -v37, v37, s18
	ds_bpermute_b32 v88, v3, v39
	ds_bpermute_b32 v89, v3, v34
	;; [unrolled: 1-line block ×3, first 2 shown]
	s_waitcnt lgkmcnt(9)
	v_add_f32_e32 v32, v32, v85
	ds_bpermute_b32 v85, v3, v45
	v_cndmask_b32_e64 v29, -v29, v29, s18
	v_cndmask_b32_e64 v25, -v25, v25, s18
	s_waitcnt lgkmcnt(9)
	v_add_f32_e32 v31, v31, v90
	v_cndmask_b32_e64 v38, -v38, v38, s18
	ds_bpermute_b32 v90, v3, v40
	s_waitcnt lgkmcnt(9)
	v_add_f32_e32 v37, v37, v86
	ds_bpermute_b32 v86, v3, v84
	v_cndmask_b32_e64 v18, -v18, v18, s18
	s_waitcnt lgkmcnt(9)
	v_add_f32_e32 v29, v29, v93
	s_waitcnt lgkmcnt(8)
	v_add_f32_e32 v25, v25, v94
	ds_bpermute_b32 v93, v3, v33
	ds_bpermute_b32 v94, v3, v35
	s_waitcnt lgkmcnt(9)
	v_add_f32_e32 v38, v38, v87
	ds_bpermute_b32 v87, v3, v41
	s_waitcnt lgkmcnt(9)
	v_add_f32_e32 v18, v18, v92
	ds_bpermute_b32 v92, v3, v28
	v_cndmask_b32_e64 v39, -v39, v39, s18
	v_cndmask_b32_e64 v34, -v34, v34, s18
	;; [unrolled: 1-line block ×5, first 2 shown]
	s_waitcnt lgkmcnt(9)
	v_add_f32_e32 v39, v39, v88
	s_waitcnt lgkmcnt(8)
	v_add_f32_e32 v34, v34, v89
	s_waitcnt lgkmcnt(7)
	v_add_f32_e32 v36, v36, v91
	v_cndmask_b32_e64 v84, -v84, v84, s18
	ds_bpermute_b32 v88, v3, v47
	ds_bpermute_b32 v89, v3, v48
	;; [unrolled: 1-line block ×3, first 2 shown]
	s_waitcnt lgkmcnt(9)
	v_add_f32_e32 v45, v45, v85
	ds_bpermute_b32 v85, v3, v52
	v_cndmask_b32_e64 v33, -v33, v33, s18
	v_cndmask_b32_e64 v35, -v35, v35, s18
	s_waitcnt lgkmcnt(9)
	v_add_f32_e32 v40, v40, v90
	ds_bpermute_b32 v90, v3, v49
	v_cndmask_b32_e64 v41, -v41, v41, s18
	s_waitcnt lgkmcnt(9)
	v_add_f32_e32 v84, v84, v86
	ds_bpermute_b32 v86, v3, v44
	v_cndmask_b32_e64 v28, -v28, v28, s18
	s_waitcnt lgkmcnt(9)
	v_add_f32_e32 v33, v33, v93
	s_waitcnt lgkmcnt(8)
	v_add_f32_e32 v35, v35, v94
	ds_bpermute_b32 v93, v3, v42
	ds_bpermute_b32 v94, v3, v8
	s_waitcnt lgkmcnt(9)
	v_add_f32_e32 v41, v41, v87
	v_xor_b32_e32 v87, 8, v4
	s_waitcnt lgkmcnt(8)
	v_add_f32_e32 v28, v28, v92
	ds_bpermute_b32 v92, v3, v46
	v_cndmask_b32_e64 v47, -v47, v47, s18
	v_cndmask_b32_e64 v48, -v48, v48, s18
	;; [unrolled: 1-line block ×4, first 2 shown]
	v_cmp_gt_i32_e64 s19, 32, v87
	v_cndmask_b32_e64 v49, -v49, v49, s18
	s_waitcnt lgkmcnt(8)
	v_add_f32_e32 v47, v47, v88
	s_waitcnt lgkmcnt(7)
	v_add_f32_e32 v48, v48, v89
	;; [unrolled: 2-line block ×3, first 2 shown]
	ds_bpermute_b32 v88, v3, v51
	ds_bpermute_b32 v89, v3, v53
	v_cndmask_b32_e64 v44, -v44, v44, s18
	ds_bpermute_b32 v91, v3, v61
	s_waitcnt lgkmcnt(8)
	v_add_f32_e32 v52, v52, v85
	v_cndmask_b32_e64 v85, v4, v87, s19
	v_cndmask_b32_e64 v42, -v42, v42, s18
	v_cndmask_b32_e64 v8, -v8, v8, s18
	s_waitcnt lgkmcnt(7)
	v_add_f32_e32 v49, v49, v90
	ds_bpermute_b32 v90, v3, v56
	s_waitcnt lgkmcnt(7)
	v_add_f32_e32 v44, v44, v86
	v_lshlrev_b32_e32 v85, 2, v85
	ds_bpermute_b32 v86, v3, v16
	v_cndmask_b32_e64 v46, -v46, v46, s18
	s_waitcnt lgkmcnt(7)
	v_add_f32_e32 v42, v42, v93
	s_waitcnt lgkmcnt(6)
	v_add_f32_e32 v8, v8, v94
	ds_bpermute_b32 v87, v3, v57
	ds_bpermute_b32 v93, v85, v55
	;; [unrolled: 1-line block ×3, first 2 shown]
	s_waitcnt lgkmcnt(8)
	v_add_f32_e32 v46, v46, v92
	v_cndmask_b32_e64 v51, -v51, v51, s18
	v_cndmask_b32_e64 v53, -v53, v53, s18
	v_cndmask_b32_e64 v61, -v61, v61, s18
	v_and_b32_e32 v92, 8, v0
	v_cndmask_b32_e64 v56, -v56, v56, s18
	ds_bpermute_b32 v95, v85, v50
	s_waitcnt lgkmcnt(8)
	v_add_f32_e32 v51, v51, v88
	s_waitcnt lgkmcnt(7)
	v_add_f32_e32 v53, v53, v89
	v_cmp_eq_u32_e64 s19, 0, v92
	s_waitcnt lgkmcnt(6)
	v_add_f32_e32 v61, v61, v91
	v_cndmask_b32_e64 v16, -v16, v16, s18
	ds_bpermute_b32 v88, v85, v5
	ds_bpermute_b32 v89, v85, v60
	;; [unrolled: 1-line block ×4, first 2 shown]
	s_waitcnt lgkmcnt(9)
	v_add_f32_e32 v56, v56, v90
	v_cndmask_b32_e64 v57, -v57, v57, s18
	v_cndmask_b32_e64 v55, -v55, v55, s19
	;; [unrolled: 1-line block ×3, first 2 shown]
	ds_bpermute_b32 v90, v85, v7
	s_waitcnt lgkmcnt(9)
	v_add_f32_e32 v16, v16, v86
	ds_bpermute_b32 v86, v85, v54
	s_waitcnt lgkmcnt(9)
	v_add_f32_e32 v57, v57, v87
	s_waitcnt lgkmcnt(8)
	v_add_f32_e32 v55, v55, v93
	;; [unrolled: 2-line block ×3, first 2 shown]
	ds_bpermute_b32 v87, v85, v68
	ds_bpermute_b32 v93, v85, v64
	ds_bpermute_b32 v94, v85, v13
	v_cndmask_b32_e64 v50, -v50, v50, s19
	v_cndmask_b32_e64 v5, -v5, v5, s19
	;; [unrolled: 1-line block ×5, first 2 shown]
	s_waitcnt lgkmcnt(9)
	v_add_f32_e32 v50, v50, v95
	v_cndmask_b32_e64 v7, -v7, v7, s19
	ds_bpermute_b32 v95, v85, v66
	s_waitcnt lgkmcnt(9)
	v_add_f32_e32 v5, v5, v88
	s_waitcnt lgkmcnt(8)
	v_add_f32_e32 v60, v60, v89
	;; [unrolled: 2-line block ×4, first 2 shown]
	v_cndmask_b32_e64 v6, -v54, v54, s19
	v_cndmask_b32_e64 v54, -v68, v68, s19
	ds_bpermute_b32 v68, v85, v15
	ds_bpermute_b32 v89, v85, v70
	;; [unrolled: 1-line block ×3, first 2 shown]
	s_waitcnt lgkmcnt(8)
	v_add_f32_e32 v7, v7, v90
	v_cndmask_b32_e64 v64, -v64, v64, s19
	v_cndmask_b32_e64 v13, -v13, v13, s19
	ds_bpermute_b32 v90, v85, v9
	ds_bpermute_b32 v91, v85, v14
	s_waitcnt lgkmcnt(9)
	v_add_f32_e32 v86, v6, v86
	v_cndmask_b32_e64 v6, -v15, v15, s19
	v_cndmask_b32_e64 v15, -v58, v58, s19
	ds_bpermute_b32 v58, v85, v10
	s_waitcnt lgkmcnt(9)
	v_add_f32_e32 v54, v54, v87
	s_waitcnt lgkmcnt(8)
	v_add_f32_e32 v64, v64, v93
	;; [unrolled: 2-line block ×3, first 2 shown]
	ds_bpermute_b32 v93, v85, v11
	ds_bpermute_b32 v94, v85, v12
	v_cndmask_b32_e64 v66, -v66, v66, s19
	v_cndmask_b32_e64 v13, -v70, v70, s19
	;; [unrolled: 1-line block ×4, first 2 shown]
	ds_bpermute_b32 v70, v85, v62
	s_waitcnt lgkmcnt(9)
	v_add_f32_e32 v66, v66, v95
	ds_bpermute_b32 v95, v85, v21
	s_waitcnt lgkmcnt(9)
	v_add_f32_e32 v68, v6, v68
	s_waitcnt lgkmcnt(8)
	v_add_f32_e32 v89, v13, v89
	;; [unrolled: 2-line block ×3, first 2 shown]
	v_cndmask_b32_e64 v6, -v10, v10, s19
	ds_bpermute_b32 v13, v85, v17
	ds_bpermute_b32 v15, v85, v19
	s_waitcnt lgkmcnt(8)
	v_add_f32_e32 v90, v9, v90
	s_waitcnt lgkmcnt(7)
	v_add_f32_e32 v91, v14, v91
	v_cndmask_b32_e64 v9, -v62, v62, s19
	v_cndmask_b32_e64 v10, -v11, v11, s19
	;; [unrolled: 1-line block ×3, first 2 shown]
	ds_bpermute_b32 v14, v85, v23
	ds_bpermute_b32 v62, v85, v22
	s_waitcnt lgkmcnt(8)
	v_add_f32_e32 v58, v6, v58
	v_cndmask_b32_e64 v6, -v17, v17, s19
	ds_bpermute_b32 v17, v85, v20
	v_cndmask_b32_e64 v12, -v21, v21, s19
	ds_bpermute_b32 v21, v85, v18
	s_waitcnt lgkmcnt(9)
	v_add_f32_e32 v93, v10, v93
	s_waitcnt lgkmcnt(8)
	v_add_f32_e32 v94, v11, v94
	v_cndmask_b32_e64 v10, -v19, v19, s19
	v_cndmask_b32_e64 v11, -v18, v18, s19
	ds_bpermute_b32 v18, v85, v24
	ds_bpermute_b32 v19, v85, v29
	s_waitcnt lgkmcnt(9)
	v_add_f32_e32 v70, v9, v70
	s_waitcnt lgkmcnt(8)
	v_add_f32_e32 v95, v12, v95
	v_cndmask_b32_e64 v9, -v23, v23, s19
	v_cndmask_b32_e64 v12, -v22, v22, s19
	ds_bpermute_b32 v22, v85, v25
	ds_bpermute_b32 v23, v85, v30
	s_waitcnt lgkmcnt(9)
	v_add_f32_e32 v96, v6, v13
	s_waitcnt lgkmcnt(8)
	v_add_f32_e32 v98, v10, v15
	v_cndmask_b32_e64 v6, -v20, v20, s19
	ds_bpermute_b32 v13, v85, v27
	ds_bpermute_b32 v15, v85, v26
	s_waitcnt lgkmcnt(9)
	v_add_f32_e32 v97, v9, v14
	s_waitcnt lgkmcnt(8)
	v_add_f32_e32 v62, v12, v62
	v_cndmask_b32_e64 v9, -v24, v24, s19
	v_cndmask_b32_e64 v10, -v29, v29, s19
	;; [unrolled: 1-line block ×3, first 2 shown]
	ds_bpermute_b32 v14, v85, v31
	ds_bpermute_b32 v20, v85, v28
	s_waitcnt lgkmcnt(9)
	v_add_f32_e32 v30, v6, v17
	ds_bpermute_b32 v17, v85, v37
	s_waitcnt lgkmcnt(8)
	v_add_f32_e32 v100, v9, v18
	s_waitcnt lgkmcnt(7)
	v_add_f32_e32 v101, v10, v19
	ds_bpermute_b32 v18, v85, v38
	ds_bpermute_b32 v19, v85, v33
	v_add_f32_e32 v99, v11, v21
	v_cndmask_b32_e64 v11, -v25, v25, s19
	ds_bpermute_b32 v21, v85, v32
	v_cndmask_b32_e64 v6, -v27, v27, s19
	v_cndmask_b32_e64 v10, -v26, v26, s19
	s_waitcnt lgkmcnt(8)
	v_add_f32_e32 v103, v12, v23
	v_add_f32_e32 v102, v11, v22
	v_cndmask_b32_e64 v9, -v31, v31, s19
	v_cndmask_b32_e64 v11, -v28, v28, s19
	;; [unrolled: 1-line block ×3, first 2 shown]
	ds_bpermute_b32 v22, v85, v35
	ds_bpermute_b32 v23, v85, v39
	s_waitcnt lgkmcnt(9)
	v_add_f32_e32 v32, v6, v13
	s_waitcnt lgkmcnt(8)
	v_add_f32_e32 v105, v10, v15
	v_cndmask_b32_e64 v6, -v37, v37, s19
	ds_bpermute_b32 v15, v85, v36
	s_waitcnt lgkmcnt(8)
	v_add_f32_e32 v104, v9, v14
	s_waitcnt lgkmcnt(7)
	v_add_f32_e32 v106, v11, v20
	v_cndmask_b32_e64 v9, -v38, v38, s19
	v_cndmask_b32_e64 v10, -v33, v33, s19
	ds_bpermute_b32 v13, v85, v34
	ds_bpermute_b32 v14, v85, v40
	;; [unrolled: 1-line block ×3, first 2 shown]
	s_waitcnt lgkmcnt(9)
	v_add_f32_e32 v33, v6, v17
	ds_bpermute_b32 v17, v85, v46
	v_cndmask_b32_e64 v11, -v35, v35, s19
	s_waitcnt lgkmcnt(9)
	v_add_f32_e32 v35, v9, v18
	s_waitcnt lgkmcnt(8)
	v_add_f32_e32 v108, v10, v19
	ds_bpermute_b32 v18, v85, v42
	ds_bpermute_b32 v19, v85, v47
	s_waitcnt lgkmcnt(9)
	v_add_f32_e32 v107, v12, v21
	v_cndmask_b32_e64 v12, -v39, v39, s19
	v_cndmask_b32_e64 v10, -v36, v36, s19
	ds_bpermute_b32 v21, v85, v84
	s_waitcnt lgkmcnt(9)
	v_add_f32_e32 v109, v11, v22
	v_cndmask_b32_e64 v6, -v34, v34, s19
	s_waitcnt lgkmcnt(8)
	v_add_f32_e32 v110, v12, v23
	v_cndmask_b32_e64 v9, -v40, v40, s19
	v_cndmask_b32_e64 v11, -v45, v45, s19
	ds_bpermute_b32 v12, v85, v41
	v_cndmask_b32_e64 v23, -v84, v84, s19
	s_waitcnt lgkmcnt(8)
	v_add_f32_e32 v84, v10, v15
	v_cndmask_b32_e64 v10, -v46, v46, s19
	s_waitcnt lgkmcnt(7)
	v_add_f32_e32 v34, v6, v13
	s_waitcnt lgkmcnt(6)
	v_add_f32_e32 v36, v9, v14
	;; [unrolled: 2-line block ×3, first 2 shown]
	ds_bpermute_b32 v9, v85, v49
	ds_bpermute_b32 v11, v85, v43
	;; [unrolled: 1-line block ×3, first 2 shown]
	v_cndmask_b32_e64 v14, -v42, v42, s19
	v_cndmask_b32_e64 v15, -v47, v47, s19
	s_waitcnt lgkmcnt(7)
	v_add_f32_e32 v114, v10, v17
	v_xor_b32_e32 v10, 16, v4
	ds_bpermute_b32 v20, v85, v52
	s_waitcnt lgkmcnt(7)
	v_add_f32_e32 v115, v14, v18
	s_waitcnt lgkmcnt(6)
	v_add_f32_e32 v116, v15, v19
	ds_bpermute_b32 v14, v85, v44
	ds_bpermute_b32 v15, v85, v51
	;; [unrolled: 1-line block ×3, first 2 shown]
	v_cmp_gt_i32_e64 s20, 32, v10
	v_cndmask_b32_e64 v6, -v41, v41, s19
	v_cndmask_b32_e64 v8, -v8, v8, s19
	ds_bpermute_b32 v22, v85, v48
	v_and_b32_e32 v19, 16, v0
	v_cndmask_b32_e64 v4, v4, v10, s20
	s_waitcnt lgkmcnt(8)
	v_add_f32_e32 v113, v6, v12
	v_cndmask_b32_e64 v6, -v49, v49, s19
	v_cndmask_b32_e64 v12, -v43, v43, s19
	s_waitcnt lgkmcnt(5)
	v_add_f32_e32 v120, v8, v13
	v_lshlrev_b32_e32 v121, 2, v4
	v_cndmask_b32_e64 v8, -v44, v44, s19
	v_add_f32_e32 v118, v6, v9
	v_cndmask_b32_e64 v6, -v52, v52, s19
	v_add_f32_e32 v119, v12, v11
	v_cndmask_b32_e64 v9, -v51, v51, s19
	v_cndmask_b32_e64 v10, -v53, v53, s19
	ds_bpermute_b32 v4, v85, v56
	ds_bpermute_b32 v11, v85, v61
	;; [unrolled: 1-line block ×5, first 2 shown]
	v_add_f32_e32 v112, v23, v21
	v_cndmask_b32_e64 v21, -v48, v48, s19
	s_waitcnt lgkmcnt(9)
	v_add_f32_e32 v85, v6, v20
	s_waitcnt lgkmcnt(8)
	v_add_f32_e32 v122, v8, v14
	;; [unrolled: 2-line block ×4, first 2 shown]
	v_cndmask_b32_e64 v6, -v56, v56, s19
	v_cndmask_b32_e64 v8, -v61, v61, s19
	;; [unrolled: 1-line block ×4, first 2 shown]
	v_cmp_eq_u32_e64 s19, 0, v19
	ds_bpermute_b32 v15, v121, v59
	ds_bpermute_b32 v16, v121, v50
	;; [unrolled: 1-line block ×5, first 2 shown]
	v_cndmask_b32_e64 v14, -v55, v55, s19
	s_waitcnt lgkmcnt(10)
	v_add_f32_e32 v117, v21, v22
	s_waitcnt lgkmcnt(9)
	v_add_f32_e32 v125, v6, v4
	;; [unrolled: 2-line block ×6, first 2 shown]
	v_cndmask_b32_e64 v6, -v59, v59, s19
	v_cndmask_b32_e64 v8, -v50, v50, s19
	;; [unrolled: 1-line block ×5, first 2 shown]
	ds_bpermute_b32 v12, v121, v88
	ds_bpermute_b32 v13, v121, v63
	;; [unrolled: 1-line block ×5, first 2 shown]
	s_waitcnt lgkmcnt(9)
	v_add_f32_e32 v5, v6, v15
	s_waitcnt lgkmcnt(8)
	v_add_f32_e32 v6, v8, v16
	;; [unrolled: 2-line block ×5, first 2 shown]
	ds_bpermute_b32 v19, v121, v87
	ds_bpermute_b32 v20, v121, v66
	;; [unrolled: 1-line block ×10, first 2 shown]
	v_cndmask_b32_e64 v10, -v88, v88, s19
	v_cndmask_b32_e64 v11, -v63, v63, s19
	;; [unrolled: 1-line block ×5, first 2 shown]
	ds_bpermute_b32 v31, v121, v94
	ds_bpermute_b32 v37, v121, v95
	;; [unrolled: 1-line block ×5, first 2 shown]
	s_waitcnt lgkmcnt(19)
	v_add_f32_e32 v10, v10, v12
	s_waitcnt lgkmcnt(18)
	v_add_f32_e32 v11, v11, v13
	;; [unrolled: 2-line block ×5, first 2 shown]
	v_cndmask_b32_e64 v15, -v87, v87, s19
	v_cndmask_b32_e64 v16, -v66, v66, s19
	;; [unrolled: 1-line block ×5, first 2 shown]
	ds_bpermute_b32 v41, v121, v99
	ds_bpermute_b32 v42, v121, v62
	;; [unrolled: 1-line block ×5, first 2 shown]
	s_waitcnt lgkmcnt(19)
	v_add_f32_e32 v15, v15, v19
	s_waitcnt lgkmcnt(18)
	v_add_f32_e32 v16, v16, v20
	;; [unrolled: 2-line block ×5, first 2 shown]
	v_cndmask_b32_e64 v20, -v91, v91, s19
	v_cndmask_b32_e64 v21, -v92, v92, s19
	;; [unrolled: 1-line block ×5, first 2 shown]
	ds_bpermute_b32 v50, v121, v105
	s_waitcnt lgkmcnt(15)
	v_add_f32_e32 v20, v20, v25
	s_waitcnt lgkmcnt(14)
	v_add_f32_e32 v21, v21, v26
	;; [unrolled: 2-line block ×5, first 2 shown]
	v_cndmask_b32_e64 v25, -v94, v94, s19
	v_cndmask_b32_e64 v26, -v95, v95, s19
	;; [unrolled: 1-line block ×5, first 2 shown]
	ds_bpermute_b32 v48, v121, v32
	ds_bpermute_b32 v53, v121, v35
	s_waitcnt lgkmcnt(12)
	v_add_f32_e32 v25, v25, v31
	s_waitcnt lgkmcnt(11)
	v_add_f32_e32 v26, v26, v37
	;; [unrolled: 2-line block ×5, first 2 shown]
	v_cndmask_b32_e64 v31, -v99, v99, s19
	v_cndmask_b32_e64 v37, -v62, v62, s19
	;; [unrolled: 1-line block ×5, first 2 shown]
	ds_bpermute_b32 v46, v121, v102
	ds_bpermute_b32 v47, v121, v103
	s_waitcnt lgkmcnt(9)
	v_add_f32_e32 v30, v31, v41
	s_waitcnt lgkmcnt(8)
	v_add_f32_e32 v31, v37, v42
	;; [unrolled: 2-line block ×5, first 2 shown]
	v_cndmask_b32_e64 v44, -v105, v105, s19
	ds_bpermute_b32 v45, v121, v106
	ds_bpermute_b32 v52, v121, v33
	;; [unrolled: 1-line block ×4, first 2 shown]
	v_cndmask_b32_e64 v32, -v32, v32, s19
	ds_bpermute_b32 v51, v121, v107
	s_waitcnt lgkmcnt(9)
	v_add_f32_e32 v44, v44, v50
	v_cndmask_b32_e64 v35, -v35, v35, s19
	ds_bpermute_b32 v50, v121, v109
	ds_bpermute_b32 v55, v121, v110
	;; [unrolled: 1-line block ×4, first 2 shown]
	s_waitcnt lgkmcnt(12)
	v_add_f32_e32 v42, v32, v48
	s_waitcnt lgkmcnt(11)
	v_add_f32_e32 v48, v35, v53
	v_cndmask_b32_e64 v35, -v36, v36, s19
	ds_bpermute_b32 v36, v121, v111
	ds_bpermute_b32 v59, v121, v112
	;; [unrolled: 1-line block ×3, first 2 shown]
	v_cndmask_b32_e64 v40, -v102, v102, s19
	v_cndmask_b32_e64 v41, -v103, v103, s19
	;; [unrolled: 1-line block ×4, first 2 shown]
	ds_bpermute_b32 v58, v121, v84
	ds_bpermute_b32 v62, v121, v115
	v_cndmask_b32_e64 v43, -v104, v104, s19
	s_waitcnt lgkmcnt(15)
	v_add_f32_e32 v40, v40, v46
	s_waitcnt lgkmcnt(14)
	v_add_f32_e32 v41, v41, v47
	v_cndmask_b32_e64 v46, -v107, v107, s19
	s_waitcnt lgkmcnt(13)
	v_add_f32_e32 v45, v32, v45
	s_waitcnt lgkmcnt(12)
	v_add_f32_e32 v47, v33, v52
	v_cndmask_b32_e64 v32, -v109, v109, s19
	v_cndmask_b32_e64 v33, -v110, v110, s19
	;; [unrolled: 1-line block ×3, first 2 shown]
	ds_bpermute_b32 v61, v121, v114
	s_waitcnt lgkmcnt(12)
	v_add_f32_e32 v53, v35, v57
	ds_bpermute_b32 v35, v121, v116
	s_waitcnt lgkmcnt(12)
	v_add_f32_e32 v43, v43, v49
	v_cndmask_b32_e64 v49, -v108, v108, s19
	s_waitcnt lgkmcnt(11)
	v_add_f32_e32 v46, v46, v51
	s_waitcnt lgkmcnt(10)
	v_add_f32_e32 v50, v32, v50
	s_waitcnt lgkmcnt(9)
	v_add_f32_e32 v51, v33, v55
	s_waitcnt lgkmcnt(8)
	v_add_f32_e32 v52, v34, v56
	v_cndmask_b32_e64 v32, -v111, v111, s19
	v_cndmask_b32_e64 v33, -v112, v112, s19
	;; [unrolled: 1-line block ×3, first 2 shown]
	ds_bpermute_b32 v63, v121, v117
	ds_bpermute_b32 v64, v121, v118
	;; [unrolled: 1-line block ×3, first 2 shown]
	s_waitcnt lgkmcnt(10)
	v_add_f32_e32 v49, v49, v54
	v_cndmask_b32_e64 v54, -v84, v84, s19
	v_cndmask_b32_e64 v68, -v115, v115, s19
	s_waitcnt lgkmcnt(9)
	v_add_f32_e32 v55, v32, v36
	s_waitcnt lgkmcnt(8)
	v_add_f32_e32 v56, v33, v59
	;; [unrolled: 2-line block ×3, first 2 shown]
	ds_bpermute_b32 v32, v121, v120
	ds_bpermute_b32 v33, v121, v85
	;; [unrolled: 1-line block ×3, first 2 shown]
	s_waitcnt lgkmcnt(9)
	v_add_f32_e32 v54, v54, v58
	v_cndmask_b32_e64 v58, -v114, v114, s19
	s_waitcnt lgkmcnt(8)
	v_add_f32_e32 v59, v68, v62
	v_cndmask_b32_e64 v36, -v116, v116, s19
	ds_bpermute_b32 v68, v121, v123
	ds_bpermute_b32 v87, v121, v124
	s_waitcnt lgkmcnt(9)
	v_add_f32_e32 v58, v58, v61
	v_cndmask_b32_e64 v61, -v117, v117, s19
	v_cndmask_b32_e64 v62, -v118, v118, s19
	;; [unrolled: 1-line block ×3, first 2 shown]
	s_waitcnt lgkmcnt(8)
	v_add_f32_e32 v60, v36, v35
	ds_bpermute_b32 v36, v121, v126
	s_waitcnt lgkmcnt(8)
	v_add_f32_e32 v61, v61, v63
	s_waitcnt lgkmcnt(7)
	v_add_f32_e32 v62, v62, v64
	;; [unrolled: 2-line block ×3, first 2 shown]
	v_cndmask_b32_e64 v64, -v120, v120, s19
	v_cndmask_b32_e64 v66, -v85, v85, s19
	;; [unrolled: 1-line block ×4, first 2 shown]
	s_barrier
	s_waitcnt lgkmcnt(5)
	v_add_f32_e32 v64, v64, v32
	s_waitcnt lgkmcnt(4)
	v_add_f32_e32 v84, v66, v33
	;; [unrolled: 2-line block ×3, first 2 shown]
	v_cndmask_b32_e64 v32, -v124, v124, s19
	v_and_b32_e32 v33, 7, v0
	v_lshrrev_b32_e32 v34, 3, v0
	s_waitcnt lgkmcnt(2)
	v_add_f32_e32 v86, v86, v68
	v_lshrrev_b32_e32 v68, 5, v0
	s_waitcnt lgkmcnt(1)
	v_add_f32_e32 v87, v32, v87
	v_cndmask_b32_e64 v32, -v126, v126, s19
	v_lshl_or_b32 v34, v33, 5, v34
	s_waitcnt lgkmcnt(0)
	buffer_gl0_inv
	v_xor_b32_e32 v0, v68, v0
	ds_bpermute_b32 v35, v121, v125
	v_add_f32_e32 v89, v32, v36
	v_xor_b32_e32 v32, v34, v33
	ds_bpermute_b32 v33, v121, v128
	v_lshl_add_u32 v36, v0, 4, 0
	ds_write_b128 v36, v[4:7]
	ds_write_b128 v36, v[8:11] offset:4096
	ds_write_b128 v36, v[12:15] offset:8192
	;; [unrolled: 1-line block ×7, first 2 shown]
	v_lshl_add_u32 v32, v32, 4, 0
	s_waitcnt lgkmcnt(0)
	s_barrier
	buffer_gl0_inv
	ds_bpermute_b32 v90, v121, v127
	ds_read_b128 v[4:7], v32
	v_cndmask_b32_e64 v34, -v128, v128, s19
	ds_read_b128 v[8:11], v32 offset:4096
	ds_read_b128 v[12:15], v32 offset:8192
	;; [unrolled: 1-line block ×7, first 2 shown]
	v_cndmask_b32_e64 v66, -v125, v125, s19
	s_waitcnt lgkmcnt(0)
	s_barrier
	buffer_gl0_inv
	v_add_f32_e32 v91, v34, v33
	v_add_f32_e32 v88, v66, v35
	v_cndmask_b32_e64 v35, -v127, v127, s19
	ds_bpermute_b32 v66, v1, v8
	ds_bpermute_b32 v68, v1, v9
	;; [unrolled: 1-line block ×3, first 2 shown]
	v_add_f32_e32 v90, v35, v90
	ds_bpermute_b32 v0, v1, v4
	ds_bpermute_b32 v33, v1, v5
	v_cndmask_b32_e64 v4, -v4, v4, s4
	v_cndmask_b32_e64 v5, -v5, v5, s4
	ds_bpermute_b32 v34, v1, v6
	ds_bpermute_b32 v35, v1, v7
	;; [unrolled: 1-line block ×5, first 2 shown]
	v_cndmask_b32_e64 v13, -v13, v13, s4
	v_cndmask_b32_e64 v14, -v14, v14, s4
	;; [unrolled: 1-line block ×3, first 2 shown]
	ds_write_b128 v36, v[41:44]
	ds_write_b128 v36, v[45:48] offset:4096
	ds_write_b128 v36, v[49:52] offset:8192
	;; [unrolled: 1-line block ×7, first 2 shown]
	s_waitcnt lgkmcnt(0)
	s_barrier
	buffer_gl0_inv
	ds_read_b128 v[41:44], v32
	ds_read_b128 v[45:48], v32 offset:4096
	ds_read_b128 v[49:52], v32 offset:8192
	;; [unrolled: 1-line block ×7, first 2 shown]
	s_waitcnt lgkmcnt(0)
	s_barrier
	v_add_f32_e32 v0, v4, v0
	v_add_f32_e32 v4, v5, v33
	v_cndmask_b32_e64 v5, -v6, v6, s4
	v_cndmask_b32_e64 v6, -v7, v7, s4
	;; [unrolled: 1-line block ×5, first 2 shown]
	ds_bpermute_b32 v10, v1, v11
	ds_bpermute_b32 v33, v1, v12
	v_add_f32_e32 v5, v5, v34
	v_add_f32_e32 v6, v6, v35
	;; [unrolled: 1-line block ×5, first 2 shown]
	v_cndmask_b32_e64 v11, -v11, v11, s4
	v_cndmask_b32_e64 v12, -v12, v12, s4
	ds_bpermute_b32 v34, v1, v16
	ds_bpermute_b32 v35, v1, v17
	;; [unrolled: 1-line block ×5, first 2 shown]
	s_waitcnt lgkmcnt(0)
	buffer_gl0_inv
	v_add_f32_e32 v10, v11, v10
	v_add_f32_e32 v11, v12, v33
	;; [unrolled: 1-line block ×5, first 2 shown]
	v_cndmask_b32_e64 v15, -v16, v16, s4
	v_cndmask_b32_e64 v16, -v17, v17, s4
	;; [unrolled: 1-line block ×5, first 2 shown]
	ds_bpermute_b32 v20, v1, v21
	ds_bpermute_b32 v33, v1, v22
	;; [unrolled: 1-line block ×5, first 2 shown]
	v_add_f32_e32 v15, v15, v34
	v_add_f32_e32 v16, v16, v35
	;; [unrolled: 1-line block ×5, first 2 shown]
	v_cndmask_b32_e64 v21, -v21, v21, s4
	v_cndmask_b32_e64 v22, -v22, v22, s4
	v_cndmask_b32_e64 v23, -v23, v23, s4
	v_cndmask_b32_e64 v24, -v24, v24, s4
	v_cndmask_b32_e64 v25, -v25, v25, s4
	ds_bpermute_b32 v34, v1, v26
	ds_bpermute_b32 v35, v1, v27
	ds_bpermute_b32 v66, v1, v28
	ds_bpermute_b32 v68, v1, v29
	ds_bpermute_b32 v70, v1, v30
	s_waitcnt lgkmcnt(9)
	v_add_f32_e32 v20, v21, v20
	s_waitcnt lgkmcnt(8)
	v_add_f32_e32 v21, v22, v33
	s_waitcnt lgkmcnt(7)
	v_add_f32_e32 v22, v23, v92
	s_waitcnt lgkmcnt(6)
	v_add_f32_e32 v23, v24, v93
	s_waitcnt lgkmcnt(5)
	v_add_f32_e32 v24, v25, v94
	v_cndmask_b32_e64 v25, -v26, v26, s4
	v_cndmask_b32_e64 v26, -v27, v27, s4
	v_cndmask_b32_e64 v27, -v28, v28, s4
	v_cndmask_b32_e64 v28, -v29, v29, s4
	v_cndmask_b32_e64 v29, -v30, v30, s4
	ds_bpermute_b32 v30, v1, v31
	ds_bpermute_b32 v33, v1, v37
	ds_bpermute_b32 v92, v1, v38
	ds_bpermute_b32 v93, v1, v39
	ds_bpermute_b32 v94, v1, v40
	s_waitcnt lgkmcnt(9)
	v_add_f32_e32 v25, v25, v34
	s_waitcnt lgkmcnt(8)
	v_add_f32_e32 v26, v26, v35
	s_waitcnt lgkmcnt(7)
	v_add_f32_e32 v27, v27, v66
	s_waitcnt lgkmcnt(6)
	v_add_f32_e32 v28, v28, v68
	s_waitcnt lgkmcnt(5)
	v_add_f32_e32 v29, v29, v70
	;; [unrolled: 20-line block ×7, first 2 shown]
	v_cndmask_b32_e64 v58, -v62, v62, s4
	v_cndmask_b32_e64 v62, -v64, v64, s4
	ds_bpermute_b32 v64, v1, v85
	ds_bpermute_b32 v92, v1, v87
	;; [unrolled: 1-line block ×4, first 2 shown]
	v_cndmask_b32_e64 v57, -v61, v61, s4
	v_cndmask_b32_e64 v61, -v63, v63, s4
	;; [unrolled: 1-line block ×3, first 2 shown]
	ds_bpermute_b32 v84, v1, v86
	s_waitcnt lgkmcnt(9)
	v_add_f32_e32 v57, v57, v59
	s_waitcnt lgkmcnt(8)
	v_add_f32_e32 v58, v58, v60
	;; [unrolled: 2-line block ×5, first 2 shown]
	v_cndmask_b32_e64 v62, -v85, v85, s4
	v_cndmask_b32_e64 v63, -v86, v86, s4
	;; [unrolled: 1-line block ×5, first 2 shown]
	ds_bpermute_b32 v85, v1, v90
	ds_bpermute_b32 v1, v1, v91
	;; [unrolled: 1-line block ×5, first 2 shown]
	s_waitcnt lgkmcnt(9)
	v_add_f32_e32 v62, v62, v64
	s_waitcnt lgkmcnt(8)
	v_add_f32_e32 v64, v66, v92
	s_waitcnt lgkmcnt(7)
	v_add_f32_e32 v66, v68, v93
	s_waitcnt lgkmcnt(6)
	v_add_f32_e32 v68, v70, v94
	v_cndmask_b32_e64 v70, -v90, v90, s4
	ds_bpermute_b32 v89, v2, v6
	ds_bpermute_b32 v90, v2, v7
	;; [unrolled: 1-line block ×3, first 2 shown]
	s_waitcnt lgkmcnt(8)
	v_add_f32_e32 v63, v63, v84
	v_cndmask_b32_e64 v84, -v91, v91, s4
	v_cndmask_b32_e64 v0, -v0, v0, s5
	;; [unrolled: 1-line block ×3, first 2 shown]
	ds_bpermute_b32 v91, v2, v8
	ds_bpermute_b32 v93, v2, v10
	v_cndmask_b32_e64 v5, -v5, v5, s5
	s_waitcnt lgkmcnt(9)
	v_add_f32_e32 v70, v70, v85
	s_waitcnt lgkmcnt(8)
	v_add_f32_e32 v1, v84, v1
	;; [unrolled: 2-line block ×4, first 2 shown]
	v_cndmask_b32_e64 v6, -v6, v6, s5
	v_cndmask_b32_e64 v7, -v7, v7, s5
	;; [unrolled: 1-line block ×3, first 2 shown]
	ds_bpermute_b32 v84, v2, v11
	ds_bpermute_b32 v85, v2, v12
	;; [unrolled: 1-line block ×4, first 2 shown]
	s_waitcnt lgkmcnt(9)
	v_add_f32_e32 v5, v5, v88
	ds_bpermute_b32 v88, v2, v15
	s_waitcnt lgkmcnt(9)
	v_add_f32_e32 v6, v6, v89
	s_waitcnt lgkmcnt(8)
	v_add_f32_e32 v89, v7, v90
	;; [unrolled: 2-line block ×3, first 2 shown]
	ds_bpermute_b32 v90, v2, v17
	ds_bpermute_b32 v92, v2, v19
	v_cndmask_b32_e64 v8, -v8, v8, s5
	v_cndmask_b32_e64 v10, -v10, v10, s5
	;; [unrolled: 1-line block ×5, first 2 shown]
	s_waitcnt lgkmcnt(8)
	v_add_f32_e32 v8, v8, v91
	s_waitcnt lgkmcnt(7)
	v_add_f32_e32 v10, v10, v93
	v_cndmask_b32_e64 v13, -v14, v14, s5
	v_cndmask_b32_e64 v14, -v15, v15, s5
	ds_bpermute_b32 v15, v2, v16
	ds_bpermute_b32 v91, v2, v18
	;; [unrolled: 1-line block ×3, first 2 shown]
	s_waitcnt lgkmcnt(9)
	v_add_f32_e32 v84, v7, v84
	s_waitcnt lgkmcnt(8)
	v_add_f32_e32 v85, v11, v85
	;; [unrolled: 2-line block ×4, first 2 shown]
	v_cndmask_b32_e64 v7, -v16, v16, s5
	v_cndmask_b32_e64 v11, -v17, v17, s5
	;; [unrolled: 1-line block ×5, first 2 shown]
	ds_bpermute_b32 v18, v2, v21
	ds_bpermute_b32 v19, v2, v22
	;; [unrolled: 1-line block ×4, first 2 shown]
	s_waitcnt lgkmcnt(9)
	v_add_f32_e32 v14, v14, v88
	ds_bpermute_b32 v88, v2, v25
	s_waitcnt lgkmcnt(9)
	v_add_f32_e32 v90, v11, v90
	s_waitcnt lgkmcnt(8)
	v_add_f32_e32 v92, v16, v92
	v_cndmask_b32_e64 v11, -v22, v22, s5
	v_cndmask_b32_e64 v16, -v24, v24, s5
	ds_bpermute_b32 v22, v2, v27
	ds_bpermute_b32 v24, v2, v29
	s_waitcnt lgkmcnt(9)
	v_add_f32_e32 v15, v7, v15
	s_waitcnt lgkmcnt(8)
	v_add_f32_e32 v91, v12, v91
	;; [unrolled: 2-line block ×3, first 2 shown]
	v_cndmask_b32_e64 v7, -v21, v21, s5
	v_cndmask_b32_e64 v12, -v23, v23, s5
	;; [unrolled: 1-line block ×3, first 2 shown]
	ds_bpermute_b32 v21, v2, v26
	ds_bpermute_b32 v23, v2, v28
	ds_bpermute_b32 v25, v2, v30
	s_waitcnt lgkmcnt(9)
	v_add_f32_e32 v18, v7, v18
	s_waitcnt lgkmcnt(8)
	v_add_f32_e32 v94, v11, v19
	;; [unrolled: 2-line block ×4, first 2 shown]
	v_cndmask_b32_e64 v7, -v26, v26, s5
	v_cndmask_b32_e64 v11, -v27, v27, s5
	;; [unrolled: 1-line block ×4, first 2 shown]
	ds_bpermute_b32 v19, v2, v31
	ds_bpermute_b32 v20, v2, v33
	ds_bpermute_b32 v26, v2, v34
	ds_bpermute_b32 v27, v2, v35
	ds_bpermute_b32 v28, v2, v37
	s_waitcnt lgkmcnt(10)
	v_add_f32_e32 v88, v17, v88
	v_cndmask_b32_e64 v17, -v30, v30, s5
	s_waitcnt lgkmcnt(9)
	v_add_f32_e32 v30, v11, v22
	s_waitcnt lgkmcnt(8)
	v_add_f32_e32 v97, v16, v24
	ds_bpermute_b32 v22, v2, v39
	ds_bpermute_b32 v24, v2, v41
	s_waitcnt lgkmcnt(9)
	v_add_f32_e32 v29, v7, v21
	s_waitcnt lgkmcnt(8)
	v_add_f32_e32 v96, v12, v23
	;; [unrolled: 2-line block ×3, first 2 shown]
	v_cndmask_b32_e64 v7, -v31, v31, s5
	v_cndmask_b32_e64 v11, -v33, v33, s5
	v_cndmask_b32_e64 v12, -v34, v34, s5
	v_cndmask_b32_e64 v16, -v35, v35, s5
	v_cndmask_b32_e64 v17, -v37, v37, s5
	ds_bpermute_b32 v21, v2, v38
	ds_bpermute_b32 v23, v2, v40
	ds_bpermute_b32 v25, v2, v42
	s_waitcnt lgkmcnt(9)
	v_add_f32_e32 v31, v7, v19
	s_waitcnt lgkmcnt(8)
	v_add_f32_e32 v33, v11, v20
	s_waitcnt lgkmcnt(7)
	v_add_f32_e32 v34, v12, v26
	s_waitcnt lgkmcnt(6)
	v_add_f32_e32 v35, v16, v27
	s_waitcnt lgkmcnt(5)
	v_add_f32_e32 v99, v17, v28
	v_cndmask_b32_e64 v11, -v39, v39, s5
	v_cndmask_b32_e64 v16, -v41, v41, s5
	ds_bpermute_b32 v19, v2, v43
	ds_bpermute_b32 v20, v2, v44
	ds_bpermute_b32 v26, v2, v45
	ds_bpermute_b32 v27, v2, v46
	ds_bpermute_b32 v28, v2, v47
	s_waitcnt lgkmcnt(9)
	v_add_f32_e32 v100, v11, v22
	s_waitcnt lgkmcnt(8)
	v_add_f32_e32 v102, v16, v24
	ds_bpermute_b32 v22, v2, v49
	ds_bpermute_b32 v24, v2, v51
	v_cndmask_b32_e64 v7, -v38, v38, s5
	v_cndmask_b32_e64 v12, -v40, v40, s5
	v_cndmask_b32_e64 v17, -v42, v42, s5
	v_cndmask_b32_e64 v11, -v44, v44, s5
	v_cndmask_b32_e64 v16, -v46, v46, s5
	s_waitcnt lgkmcnt(9)
	v_add_f32_e32 v38, v7, v21
	s_waitcnt lgkmcnt(8)
	v_add_f32_e32 v101, v12, v23
	s_waitcnt lgkmcnt(7)
	v_add_f32_e32 v103, v17, v25
	v_cndmask_b32_e64 v7, -v43, v43, s5
	v_cndmask_b32_e64 v12, -v45, v45, s5
	v_cndmask_b32_e64 v17, -v47, v47, s5
	ds_bpermute_b32 v21, v2, v48
	ds_bpermute_b32 v23, v2, v50
	ds_bpermute_b32 v25, v2, v52
	s_waitcnt lgkmcnt(9)
	v_add_f32_e32 v43, v7, v19
	s_waitcnt lgkmcnt(8)
	v_add_f32_e32 v104, v11, v20
	s_waitcnt lgkmcnt(7)
	v_add_f32_e32 v105, v12, v26
	s_waitcnt lgkmcnt(6)
	v_add_f32_e32 v106, v16, v27
	s_waitcnt lgkmcnt(5)
	v_add_f32_e32 v107, v17, v28
	v_cndmask_b32_e64 v11, -v49, v49, s5
	v_cndmask_b32_e64 v16, -v51, v51, s5
	ds_bpermute_b32 v19, v2, v53
	ds_bpermute_b32 v20, v2, v54
	ds_bpermute_b32 v26, v2, v55
	ds_bpermute_b32 v27, v2, v56
	ds_bpermute_b32 v28, v2, v57
	s_waitcnt lgkmcnt(9)
	v_add_f32_e32 v108, v11, v22
	s_waitcnt lgkmcnt(8)
	v_add_f32_e32 v110, v16, v24
	ds_bpermute_b32 v22, v2, v59
	ds_bpermute_b32 v24, v2, v61
	v_cndmask_b32_e64 v7, -v48, v48, s5
	v_cndmask_b32_e64 v12, -v50, v50, s5
	v_cndmask_b32_e64 v17, -v52, v52, s5
	v_cndmask_b32_e64 v11, -v54, v54, s5
	v_cndmask_b32_e64 v16, -v56, v56, s5
	s_waitcnt lgkmcnt(9)
	v_add_f32_e32 v48, v7, v21
	s_waitcnt lgkmcnt(8)
	v_add_f32_e32 v109, v12, v23
	s_waitcnt lgkmcnt(7)
	v_add_f32_e32 v111, v17, v25
	v_cndmask_b32_e64 v7, -v53, v53, s5
	v_cndmask_b32_e64 v12, -v55, v55, s5
	v_cndmask_b32_e64 v17, -v57, v57, s5
	;; [unrolled: 40-line block ×3, first 2 shown]
	ds_bpermute_b32 v2, v2, v1
	ds_bpermute_b32 v21, v3, v0
	;; [unrolled: 1-line block ×3, first 2 shown]
	s_waitcnt lgkmcnt(9)
	v_add_f32_e32 v63, v7, v19
	s_waitcnt lgkmcnt(8)
	v_add_f32_e32 v66, v11, v20
	s_waitcnt lgkmcnt(7)
	v_add_f32_e32 v68, v12, v26
	s_waitcnt lgkmcnt(6)
	v_add_f32_e32 v70, v16, v27
	s_waitcnt lgkmcnt(5)
	v_add_f32_e32 v120, v17, v28
	v_cndmask_b32_e64 v7, -v4, v4, s18
	v_cndmask_b32_e64 v12, -v6, v6, s18
	ds_bpermute_b32 v16, v3, v89
	ds_bpermute_b32 v17, v3, v8
	;; [unrolled: 1-line block ×5, first 2 shown]
	v_cndmask_b32_e64 v11, -v5, v5, s18
	s_waitcnt lgkmcnt(9)
	v_add_f32_e32 v5, v7, v22
	s_waitcnt lgkmcnt(8)
	v_add_f32_e32 v7, v12, v24
	ds_bpermute_b32 v24, v3, v13
	ds_bpermute_b32 v26, v3, v14
	;; [unrolled: 1-line block ×3, first 2 shown]
	v_cndmask_b32_e64 v1, -v1, v1, s5
	v_cndmask_b32_e64 v0, -v0, v0, s18
	s_waitcnt lgkmcnt(8)
	v_add_f32_e32 v6, v11, v23
	v_cndmask_b32_e64 v11, -v9, v9, s18
	v_cndmask_b32_e64 v12, -v10, v10, s18
	v_add_f32_e32 v1, v1, v2
	v_add_f32_e32 v4, v0, v21
	v_cndmask_b32_e64 v0, -v89, v89, s18
	v_cndmask_b32_e64 v2, -v8, v8, s18
	;; [unrolled: 1-line block ×3, first 2 shown]
	ds_bpermute_b32 v22, v3, v85
	ds_bpermute_b32 v23, v3, v86
	s_waitcnt lgkmcnt(9)
	v_add_f32_e32 v8, v0, v16
	s_waitcnt lgkmcnt(8)
	v_add_f32_e32 v9, v2, v17
	s_waitcnt lgkmcnt(7)
	v_add_f32_e32 v10, v11, v19
	s_waitcnt lgkmcnt(6)
	v_add_f32_e32 v11, v12, v20
	s_waitcnt lgkmcnt(5)
	v_add_f32_e32 v12, v21, v25
	v_cndmask_b32_e64 v16, -v13, v13, s18
	v_cndmask_b32_e64 v17, -v14, v14, s18
	;; [unrolled: 1-line block ×3, first 2 shown]
	ds_bpermute_b32 v20, v3, v90
	ds_bpermute_b32 v21, v3, v91
	;; [unrolled: 1-line block ×4, first 2 shown]
	s_waitcnt lgkmcnt(8)
	v_add_f32_e32 v15, v16, v24
	s_waitcnt lgkmcnt(7)
	v_add_f32_e32 v16, v17, v26
	;; [unrolled: 2-line block ×3, first 2 shown]
	ds_bpermute_b32 v27, v3, v95
	ds_bpermute_b32 v41, v3, v29
	v_cndmask_b32_e64 v0, -v85, v85, s18
	v_cndmask_b32_e64 v2, -v86, v86, s18
	ds_bpermute_b32 v28, v3, v93
	v_cndmask_b32_e64 v24, -v18, v18, s18
	ds_bpermute_b32 v26, v3, v94
	s_waitcnt lgkmcnt(9)
	v_add_f32_e32 v13, v0, v22
	s_waitcnt lgkmcnt(8)
	v_add_f32_e32 v14, v2, v23
	v_cndmask_b32_e64 v0, -v90, v90, s18
	v_cndmask_b32_e64 v2, -v91, v91, s18
	;; [unrolled: 1-line block ×3, first 2 shown]
	ds_bpermute_b32 v39, v3, v87
	ds_bpermute_b32 v40, v3, v88
	s_waitcnt lgkmcnt(9)
	v_add_f32_e32 v18, v0, v20
	s_waitcnt lgkmcnt(8)
	v_add_f32_e32 v19, v2, v21
	;; [unrolled: 2-line block ×4, first 2 shown]
	v_cndmask_b32_e64 v2, -v95, v95, s18
	v_cndmask_b32_e64 v29, -v29, v29, s18
	ds_bpermute_b32 v37, v3, v30
	ds_bpermute_b32 v42, v3, v96
	;; [unrolled: 1-line block ×5, first 2 shown]
	v_cndmask_b32_e64 v23, -v93, v93, s18
	s_waitcnt lgkmcnt(10)
	v_add_f32_e32 v24, v2, v27
	s_waitcnt lgkmcnt(9)
	v_add_f32_e32 v27, v29, v41
	ds_bpermute_b32 v41, v3, v33
	ds_bpermute_b32 v49, v3, v35
	;; [unrolled: 1-line block ×4, first 2 shown]
	s_waitcnt lgkmcnt(12)
	v_add_f32_e32 v21, v23, v28
	v_cndmask_b32_e64 v0, -v94, v94, s18
	v_cndmask_b32_e64 v25, -v87, v87, s18
	v_cndmask_b32_e64 v28, -v88, v88, s18
	ds_bpermute_b32 v47, v3, v34
	ds_bpermute_b32 v54, v3, v43
	s_waitcnt lgkmcnt(13)
	v_add_f32_e32 v23, v0, v26
	s_waitcnt lgkmcnt(12)
	v_add_f32_e32 v25, v25, v39
	;; [unrolled: 2-line block ×3, first 2 shown]
	v_cndmask_b32_e64 v0, -v30, v30, s18
	v_cndmask_b32_e64 v2, -v96, v96, s18
	;; [unrolled: 1-line block ×5, first 2 shown]
	s_waitcnt lgkmcnt(10)
	v_add_f32_e32 v28, v0, v37
	s_waitcnt lgkmcnt(9)
	v_add_f32_e32 v29, v2, v42
	;; [unrolled: 2-line block ×5, first 2 shown]
	v_cndmask_b32_e64 v0, -v33, v33, s18
	v_cndmask_b32_e64 v2, -v34, v34, s18
	;; [unrolled: 1-line block ×5, first 2 shown]
	ds_bpermute_b32 v44, v3, v100
	ds_bpermute_b32 v45, v3, v101
	;; [unrolled: 1-line block ×4, first 2 shown]
	s_waitcnt lgkmcnt(9)
	v_add_f32_e32 v38, v0, v41
	s_waitcnt lgkmcnt(8)
	v_add_f32_e32 v40, v33, v49
	s_waitcnt lgkmcnt(7)
	v_add_f32_e32 v41, v34, v50
	s_waitcnt lgkmcnt(6)
	v_add_f32_e32 v42, v35, v51
	v_cndmask_b32_e64 v35, -v43, v43, s18
	ds_bpermute_b32 v49, v3, v104
	ds_bpermute_b32 v50, v3, v105
	;; [unrolled: 1-line block ×4, first 2 shown]
	s_waitcnt lgkmcnt(9)
	v_add_f32_e32 v39, v2, v47
	ds_bpermute_b32 v56, v3, v48
	s_waitcnt lgkmcnt(9)
	v_add_f32_e32 v47, v35, v54
	ds_bpermute_b32 v54, v3, v108
	ds_bpermute_b32 v57, v3, v109
	;; [unrolled: 1-line block ×4, first 2 shown]
	v_cndmask_b32_e64 v0, -v100, v100, s18
	v_cndmask_b32_e64 v2, -v101, v101, s18
	v_cndmask_b32_e64 v33, -v102, v102, s18
	v_cndmask_b32_e64 v34, -v103, v103, s18
	ds_bpermute_b32 v61, v3, v53
	ds_bpermute_b32 v62, v3, v112
	;; [unrolled: 1-line block ×5, first 2 shown]
	s_waitcnt lgkmcnt(17)
	v_add_f32_e32 v43, v0, v44
	s_waitcnt lgkmcnt(16)
	v_add_f32_e32 v44, v2, v45
	;; [unrolled: 2-line block ×4, first 2 shown]
	v_cndmask_b32_e64 v0, -v104, v104, s18
	v_cndmask_b32_e64 v2, -v105, v105, s18
	;; [unrolled: 1-line block ×5, first 2 shown]
	s_waitcnt lgkmcnt(13)
	v_add_f32_e32 v48, v0, v49
	s_waitcnt lgkmcnt(12)
	v_add_f32_e32 v49, v2, v50
	;; [unrolled: 2-line block ×4, first 2 shown]
	v_cndmask_b32_e64 v0, -v108, v108, s18
	v_cndmask_b32_e64 v2, -v109, v109, s18
	;; [unrolled: 1-line block ×4, first 2 shown]
	ds_bpermute_b32 v86, v3, v58
	s_waitcnt lgkmcnt(10)
	v_add_f32_e32 v52, v35, v56
	v_cndmask_b32_e64 v35, -v53, v53, s18
	s_waitcnt lgkmcnt(9)
	v_add_f32_e32 v53, v0, v54
	s_waitcnt lgkmcnt(8)
	v_add_f32_e32 v54, v2, v57
	;; [unrolled: 2-line block ×4, first 2 shown]
	v_cndmask_b32_e64 v0, -v112, v112, s18
	v_cndmask_b32_e64 v2, -v113, v113, s18
	;; [unrolled: 1-line block ×4, first 2 shown]
	ds_bpermute_b32 v87, v3, v116
	s_waitcnt lgkmcnt(6)
	v_add_f32_e32 v57, v35, v61
	v_cndmask_b32_e64 v35, -v58, v58, s18
	ds_bpermute_b32 v88, v3, v117
	ds_bpermute_b32 v89, v3, v118
	;; [unrolled: 1-line block ×4, first 2 shown]
	s_waitcnt lgkmcnt(9)
	v_add_f32_e32 v58, v0, v62
	s_waitcnt lgkmcnt(8)
	v_add_f32_e32 v59, v2, v64
	;; [unrolled: 2-line block ×4, first 2 shown]
	ds_bpermute_b32 v0, v3, v66
	ds_bpermute_b32 v2, v3, v68
	;; [unrolled: 1-line block ×5, first 2 shown]
	s_waitcnt lgkmcnt(10)
	v_add_f32_e32 v62, v35, v86
	v_cndmask_b32_e64 v35, -v116, v116, s18
	v_cndmask_b32_e64 v64, -v117, v117, s18
	;; [unrolled: 1-line block ×5, first 2 shown]
	s_waitcnt lgkmcnt(9)
	v_add_f32_e32 v63, v35, v87
	v_cndmask_b32_e64 v35, -v66, v66, s18
	v_cndmask_b32_e64 v66, -v68, v68, s18
	v_cndmask_b32_e64 v68, -v70, v70, s18
	v_cndmask_b32_e64 v70, -v120, v120, s18
	v_cndmask_b32_e64 v1, -v1, v1, s18
	s_waitcnt lgkmcnt(8)
	v_add_f32_e32 v64, v64, v88
	s_waitcnt lgkmcnt(7)
	v_add_f32_e32 v84, v84, v89
	;; [unrolled: 2-line block ×9, first 2 shown]
	ds_write_b128 v32, v[4:7]
	ds_write_b128 v32, v[8:11] offset:4096
	ds_write_b128 v32, v[12:15] offset:8192
	;; [unrolled: 1-line block ×7, first 2 shown]
	s_waitcnt lgkmcnt(0)
	s_barrier
	buffer_gl0_inv
	ds_read_b128 v[24:27], v36
	ds_read_b128 v[28:31], v36 offset:4096
	ds_read_b128 v[16:19], v36 offset:8192
	;; [unrolled: 1-line block ×7, first 2 shown]
	s_waitcnt lgkmcnt(0)
	s_barrier
	buffer_gl0_inv
	ds_write_b128 v32, v[41:44]
	ds_write_b128 v32, v[45:48] offset:4096
	ds_write_b128 v32, v[49:52] offset:8192
	;; [unrolled: 1-line block ×7, first 2 shown]
	s_waitcnt lgkmcnt(0)
	s_barrier
	buffer_gl0_inv
	ds_read_b128 v[56:59], v36
	ds_read_b128 v[60:63], v36 offset:4096
	ds_read_b128 v[48:51], v36 offset:8192
	;; [unrolled: 1-line block ×7, first 2 shown]
	s_mul_i32 s4, s26, s28
	s_mul_hi_u32 s5, s26, s6
	s_add_i32 s4, s5, s4
	s_mul_i32 s5, s27, s6
	v_add_f32_e32 v104, v24, v28
	v_add_f32_e32 v105, v25, v29
	;; [unrolled: 1-line block ×16, first 2 shown]
	s_waitcnt lgkmcnt(6)
	v_add_f32_e32 v120, v56, v60
	v_add_f32_e32 v121, v57, v61
	v_add_f32_e32 v122, v58, v62
	v_add_f32_e32 v123, v59, v63
	s_waitcnt lgkmcnt(4)
	v_add_f32_e32 v124, v48, v52
	v_add_f32_e32 v125, v49, v53
	v_add_f32_e32 v126, v50, v54
	v_add_f32_e32 v127, v51, v55
	;; [unrolled: 5-line block ×4, first 2 shown]
	v_add_f32_e32 v88, v104, v108
	v_add_f32_e32 v89, v105, v109
	;; [unrolled: 1-line block ×16, first 2 shown]
	s_add_i32 s5, s4, s5
	s_mul_i32 s4, s26, s6
	v_add_f32_e32 v64, v88, v92
	s_lshl_b64 s[4:5], s[4:5], 2
	v_add_f32_e32 v66, v89, v93
	v_add_f32_e32 v68, v90, v94
	;; [unrolled: 1-line block ×7, first 2 shown]
	s_add_u32 s4, s22, s4
	s_addc_u32 s5, s23, s5
	s_and_saveexec_b32 s6, s12
	s_cbranch_execz .LBB11_34
; %bb.33:
	v_add_f32_e32 v136, v87, v70
	v_add_f32_e32 v137, v86, v68
	;; [unrolled: 1-line block ×4, first 2 shown]
	v_mul_f32_e32 v139, s21, v136
	v_mul_f32_e32 v138, s21, v137
	;; [unrolled: 1-line block ×4, first 2 shown]
	global_store_dwordx4 v82, v[136:139], s[4:5]
.LBB11_34:
	s_or_b32 exec_lo, exec_lo, s6
	v_sub_f32_e32 v28, v24, v28
	v_sub_f32_e32 v29, v25, v29
	;; [unrolled: 1-line block ×32, first 2 shown]
	v_add_f32_e32 v16, v28, v136
	v_add_f32_e32 v17, v29, v137
	v_add_f32_e32 v18, v30, v138
	v_add_f32_e32 v19, v31, v139
	v_add_f32_e32 v20, v140, v144
	v_add_f32_e32 v21, v141, v145
	v_add_f32_e32 v22, v142, v146
	v_add_f32_e32 v23, v143, v147
	v_add_f32_e32 v24, v148, v48
	v_add_f32_e32 v25, v149, v49
	v_add_f32_e32 v26, v150, v50
	v_add_f32_e32 v27, v151, v51
	v_add_f32_e32 v32, v40, v36
	v_add_f32_e32 v33, v41, v37
	v_add_f32_e32 v34, v42, v38
	v_add_f32_e32 v35, v43, v39
	v_add_f32_e32 v0, v16, v20
	v_add_f32_e32 v1, v17, v21
	v_add_f32_e32 v2, v18, v22
	v_add_f32_e32 v3, v19, v23
	v_add_f32_e32 v4, v24, v32
	v_add_f32_e32 v5, v25, v33
	v_add_f32_e32 v6, v26, v34
	v_add_f32_e32 v7, v27, v35
	s_and_saveexec_b32 s6, s8
	s_cbranch_execz .LBB11_36
; %bb.35:
	v_add_f32_e32 v8, v4, v0
	v_add_f32_e32 v9, v5, v1
	;; [unrolled: 1-line block ×4, first 2 shown]
	v_mul_f32_e32 v8, s21, v8
	v_mul_f32_e32 v9, s21, v9
	;; [unrolled: 1-line block ×4, first 2 shown]
	global_store_dwordx4 v78, v[8:11], s[4:5]
.LBB11_36:
	s_or_b32 exec_lo, exec_lo, s6
	v_sub_f32_e32 v56, v104, v108
	v_sub_f32_e32 v57, v105, v109
	;; [unrolled: 1-line block ×16, first 2 shown]
	v_add_f32_e32 v8, v56, v60
	v_add_f32_e32 v9, v57, v61
	;; [unrolled: 1-line block ×8, first 2 shown]
	s_and_saveexec_b32 s6, s14
	s_cbranch_execz .LBB11_38
; %bb.37:
	v_add_f32_e32 v44, v12, v8
	v_add_f32_e32 v45, v13, v9
	;; [unrolled: 1-line block ×4, first 2 shown]
	v_mul_f32_e32 v44, s21, v44
	v_mul_f32_e32 v45, s21, v45
	;; [unrolled: 1-line block ×4, first 2 shown]
	global_store_dwordx4 v76, v[44:47], s[4:5]
.LBB11_38:
	s_or_b32 exec_lo, exec_lo, s6
	v_sub_f32_e32 v76, v28, v136
	v_sub_f32_e32 v110, v29, v137
	;; [unrolled: 1-line block ×16, first 2 shown]
	v_add_f32_e32 v28, v76, v113
	v_add_f32_e32 v29, v110, v114
	;; [unrolled: 1-line block ×8, first 2 shown]
	s_and_saveexec_b32 s6, vcc_lo
	s_cbranch_execz .LBB11_40
; %bb.39:
	v_add_f32_e32 v40, v36, v28
	v_add_f32_e32 v41, v37, v29
	v_add_f32_e32 v42, v38, v30
	v_add_f32_e32 v43, v39, v31
	v_mul_f32_e32 v40, s21, v40
	v_mul_f32_e32 v41, s21, v41
	v_mul_f32_e32 v42, s21, v42
	v_mul_f32_e32 v43, s21, v43
	global_store_dwordx4 v71, v[40:43], s[4:5]
.LBB11_40:
	s_or_b32 exec_lo, exec_lo, s6
	v_sub_f32_e32 v44, v88, v92
	v_sub_f32_e32 v45, v89, v93
	v_sub_f32_e32 v46, v90, v94
	v_sub_f32_e32 v47, v91, v95
	v_sub_f32_e32 v52, v96, v100
	v_sub_f32_e32 v53, v97, v101
	v_sub_f32_e32 v54, v98, v102
	v_sub_f32_e32 v55, v99, v103
	s_and_saveexec_b32 s6, s0
	s_cbranch_execz .LBB11_42
; %bb.41:
	v_add_f32_e32 v40, v44, v52
	v_add_f32_e32 v41, v45, v53
	v_add_f32_e32 v42, v46, v54
	v_add_f32_e32 v43, v47, v55
	v_mul_f32_e32 v40, s21, v40
	v_mul_f32_e32 v41, s21, v41
	v_mul_f32_e32 v42, s21, v42
	v_mul_f32_e32 v43, s21, v43
	global_store_dwordx4 v72, v[40:43], s[4:5]
.LBB11_42:
	s_or_b32 exec_lo, exec_lo, s6
	v_sub_f32_e32 v40, v16, v20
	v_sub_f32_e32 v41, v17, v21
	v_sub_f32_e32 v42, v18, v22
	v_sub_f32_e32 v43, v19, v23
	v_sub_f32_e32 v48, v24, v32
	v_sub_f32_e32 v49, v25, v33
	v_sub_f32_e32 v50, v26, v34
	v_sub_f32_e32 v51, v27, v35
	s_and_saveexec_b32 s0, s1
	;; [unrolled: 22-line block ×4, first 2 shown]
	s_cbranch_execnz .LBB11_56
; %bb.47:
	s_or_b32 exec_lo, exec_lo, s0
	s_and_saveexec_b32 s0, s7
	s_cbranch_execnz .LBB11_57
.LBB11_48:
	s_or_b32 exec_lo, exec_lo, s0
	s_and_saveexec_b32 s0, s9
	s_cbranch_execnz .LBB11_58
.LBB11_49:
	s_or_b32 exec_lo, exec_lo, s0
	s_and_saveexec_b32 s0, s10
	s_cbranch_execnz .LBB11_59
.LBB11_50:
	s_or_b32 exec_lo, exec_lo, s0
	s_and_saveexec_b32 s0, s11
	s_cbranch_execnz .LBB11_60
.LBB11_51:
	s_or_b32 exec_lo, exec_lo, s0
	s_and_saveexec_b32 s0, s13
	s_cbranch_execnz .LBB11_61
.LBB11_52:
	s_or_b32 exec_lo, exec_lo, s0
	s_and_saveexec_b32 s0, s15
	s_cbranch_execnz .LBB11_62
.LBB11_53:
	s_or_b32 exec_lo, exec_lo, s0
	s_and_saveexec_b32 s0, s16
	s_cbranch_execnz .LBB11_63
.LBB11_54:
	s_or_b32 exec_lo, exec_lo, s0
	s_and_saveexec_b32 s0, s17
	s_cbranch_execnz .LBB11_64
.LBB11_55:
	s_endpgm
.LBB11_56:
	v_add_f32_e32 v56, v16, v20
	v_add_f32_e32 v57, v17, v21
	;; [unrolled: 1-line block ×4, first 2 shown]
	v_mul_f32_e32 v56, s21, v56
	v_mul_f32_e32 v57, s21, v57
	;; [unrolled: 1-line block ×4, first 2 shown]
	global_store_dwordx4 v75, v[56:59], s[4:5]
	s_or_b32 exec_lo, exec_lo, s0
	s_and_saveexec_b32 s0, s7
	s_cbranch_execz .LBB11_48
.LBB11_57:
	v_sub_f32_e32 v56, v64, v84
	v_sub_f32_e32 v57, v66, v85
	;; [unrolled: 1-line block ×4, first 2 shown]
	v_mul_f32_e32 v56, s21, v56
	v_mul_f32_e32 v57, s21, v57
	;; [unrolled: 1-line block ×4, first 2 shown]
	global_store_dwordx4 v77, v[56:59], s[4:5]
	s_or_b32 exec_lo, exec_lo, s0
	s_and_saveexec_b32 s0, s9
	s_cbranch_execz .LBB11_49
.LBB11_58:
	v_sub_f32_e32 v0, v0, v4
	v_sub_f32_e32 v1, v1, v5
	;; [unrolled: 1-line block ×4, first 2 shown]
	v_mul_f32_e32 v0, s21, v0
	v_mul_f32_e32 v1, s21, v1
	;; [unrolled: 1-line block ×4, first 2 shown]
	global_store_dwordx4 v79, v[0:3], s[4:5]
	s_or_b32 exec_lo, exec_lo, s0
	s_and_saveexec_b32 s0, s10
	s_cbranch_execz .LBB11_50
.LBB11_59:
	v_sub_f32_e32 v0, v8, v12
	v_sub_f32_e32 v1, v9, v13
	;; [unrolled: 1-line block ×4, first 2 shown]
	v_mul_f32_e32 v0, s21, v0
	v_mul_f32_e32 v1, s21, v1
	;; [unrolled: 1-line block ×4, first 2 shown]
	global_store_dwordx4 v80, v[0:3], s[4:5]
	s_or_b32 exec_lo, exec_lo, s0
	s_and_saveexec_b32 s0, s11
	s_cbranch_execz .LBB11_51
.LBB11_60:
	v_sub_f32_e32 v0, v28, v36
	v_sub_f32_e32 v1, v29, v37
	;; [unrolled: 1-line block ×4, first 2 shown]
	v_mul_f32_e32 v0, s21, v0
	v_mul_f32_e32 v1, s21, v1
	;; [unrolled: 1-line block ×4, first 2 shown]
	global_store_dwordx4 v81, v[0:3], s[4:5]
	s_or_b32 exec_lo, exec_lo, s0
	s_and_saveexec_b32 s0, s13
	s_cbranch_execz .LBB11_52
.LBB11_61:
	v_sub_f32_e32 v0, v44, v52
	v_sub_f32_e32 v1, v45, v53
	;; [unrolled: 1-line block ×4, first 2 shown]
	v_mul_f32_e32 v0, s21, v0
	v_mul_f32_e32 v1, s21, v1
	;; [unrolled: 1-line block ×4, first 2 shown]
	global_store_dwordx4 v83, v[0:3], s[4:5]
	s_or_b32 exec_lo, exec_lo, s0
	s_and_saveexec_b32 s0, s15
	s_cbranch_execz .LBB11_53
.LBB11_62:
	v_mov_b32_e32 v68, 0
	v_sub_f32_e32 v0, v40, v48
	v_sub_f32_e32 v1, v41, v49
	v_sub_f32_e32 v2, v42, v50
	v_sub_f32_e32 v3, v43, v51
	v_lshlrev_b64 v[4:5], 4, v[67:68]
	v_mul_f32_e32 v0, s21, v0
	v_mul_f32_e32 v1, s21, v1
	;; [unrolled: 1-line block ×4, first 2 shown]
	v_add_co_u32 v4, vcc_lo, s4, v4
	v_add_co_ci_u32_e64 v5, null, s5, v5, vcc_lo
	global_store_dwordx4 v[4:5], v[0:3], off
	s_or_b32 exec_lo, exec_lo, s0
	s_and_saveexec_b32 s0, s16
	s_cbranch_execz .LBB11_54
.LBB11_63:
	v_mov_b32_e32 v66, 0
	v_sub_f32_e32 v0, v24, v32
	v_sub_f32_e32 v1, v25, v33
	;; [unrolled: 1-line block ×4, first 2 shown]
	v_lshlrev_b64 v[4:5], 4, v[65:66]
	v_mul_f32_e32 v0, s21, v0
	v_mul_f32_e32 v1, s21, v1
	;; [unrolled: 1-line block ×4, first 2 shown]
	v_add_co_u32 v4, vcc_lo, s4, v4
	v_add_co_ci_u32_e64 v5, null, s5, v5, vcc_lo
	global_store_dwordx4 v[4:5], v[0:3], off
	s_or_b32 exec_lo, exec_lo, s0
	s_and_saveexec_b32 s0, s17
	s_cbranch_execz .LBB11_55
.LBB11_64:
	v_mov_b32_e32 v70, 0
	v_sub_f32_e32 v0, v16, v20
	v_sub_f32_e32 v1, v17, v21
	;; [unrolled: 1-line block ×4, first 2 shown]
	v_lshlrev_b64 v[4:5], 4, v[69:70]
	v_mul_f32_e32 v0, s21, v0
	v_mul_f32_e32 v1, s21, v1
	;; [unrolled: 1-line block ×4, first 2 shown]
	v_add_co_u32 v4, vcc_lo, s4, v4
	v_add_co_ci_u32_e64 v5, null, s5, v5, vcc_lo
	global_store_dwordx4 v[4:5], v[0:3], off
	s_endpgm
	.section	.rodata,"a",@progbits
	.p2align	6, 0x0
	.amdhsa_kernel _Z30fast_hadamard_transform_kernelI37fast_hadamard_transform_kernel_traitsILi256ELi14EfEEv18HadamardParamsBase
		.amdhsa_group_segment_fixed_size 0
		.amdhsa_private_segment_fixed_size 0
		.amdhsa_kernarg_size 312
		.amdhsa_user_sgpr_count 6
		.amdhsa_user_sgpr_private_segment_buffer 1
		.amdhsa_user_sgpr_dispatch_ptr 0
		.amdhsa_user_sgpr_queue_ptr 0
		.amdhsa_user_sgpr_kernarg_segment_ptr 1
		.amdhsa_user_sgpr_dispatch_id 0
		.amdhsa_user_sgpr_flat_scratch_init 0
		.amdhsa_user_sgpr_private_segment_size 0
		.amdhsa_wavefront_size32 1
		.amdhsa_uses_dynamic_stack 0
		.amdhsa_system_sgpr_private_segment_wavefront_offset 0
		.amdhsa_system_sgpr_workgroup_id_x 1
		.amdhsa_system_sgpr_workgroup_id_y 0
		.amdhsa_system_sgpr_workgroup_id_z 0
		.amdhsa_system_sgpr_workgroup_info 0
		.amdhsa_system_vgpr_workitem_id 0
		.amdhsa_next_free_vgpr 152
		.amdhsa_next_free_sgpr 30
		.amdhsa_reserve_vcc 1
		.amdhsa_reserve_flat_scratch 0
		.amdhsa_float_round_mode_32 0
		.amdhsa_float_round_mode_16_64 0
		.amdhsa_float_denorm_mode_32 3
		.amdhsa_float_denorm_mode_16_64 3
		.amdhsa_dx10_clamp 1
		.amdhsa_ieee_mode 1
		.amdhsa_fp16_overflow 0
		.amdhsa_workgroup_processor_mode 1
		.amdhsa_memory_ordered 1
		.amdhsa_forward_progress 1
		.amdhsa_shared_vgpr_count 0
		.amdhsa_exception_fp_ieee_invalid_op 0
		.amdhsa_exception_fp_denorm_src 0
		.amdhsa_exception_fp_ieee_div_zero 0
		.amdhsa_exception_fp_ieee_overflow 0
		.amdhsa_exception_fp_ieee_underflow 0
		.amdhsa_exception_fp_ieee_inexact 0
		.amdhsa_exception_int_div_zero 0
	.end_amdhsa_kernel
	.section	.text._Z30fast_hadamard_transform_kernelI37fast_hadamard_transform_kernel_traitsILi256ELi14EfEEv18HadamardParamsBase,"axG",@progbits,_Z30fast_hadamard_transform_kernelI37fast_hadamard_transform_kernel_traitsILi256ELi14EfEEv18HadamardParamsBase,comdat
.Lfunc_end11:
	.size	_Z30fast_hadamard_transform_kernelI37fast_hadamard_transform_kernel_traitsILi256ELi14EfEEv18HadamardParamsBase, .Lfunc_end11-_Z30fast_hadamard_transform_kernelI37fast_hadamard_transform_kernel_traitsILi256ELi14EfEEv18HadamardParamsBase
                                        ; -- End function
	.set _Z30fast_hadamard_transform_kernelI37fast_hadamard_transform_kernel_traitsILi256ELi14EfEEv18HadamardParamsBase.num_vgpr, 152
	.set _Z30fast_hadamard_transform_kernelI37fast_hadamard_transform_kernel_traitsILi256ELi14EfEEv18HadamardParamsBase.num_agpr, 0
	.set _Z30fast_hadamard_transform_kernelI37fast_hadamard_transform_kernel_traitsILi256ELi14EfEEv18HadamardParamsBase.numbered_sgpr, 30
	.set _Z30fast_hadamard_transform_kernelI37fast_hadamard_transform_kernel_traitsILi256ELi14EfEEv18HadamardParamsBase.num_named_barrier, 0
	.set _Z30fast_hadamard_transform_kernelI37fast_hadamard_transform_kernel_traitsILi256ELi14EfEEv18HadamardParamsBase.private_seg_size, 0
	.set _Z30fast_hadamard_transform_kernelI37fast_hadamard_transform_kernel_traitsILi256ELi14EfEEv18HadamardParamsBase.uses_vcc, 1
	.set _Z30fast_hadamard_transform_kernelI37fast_hadamard_transform_kernel_traitsILi256ELi14EfEEv18HadamardParamsBase.uses_flat_scratch, 0
	.set _Z30fast_hadamard_transform_kernelI37fast_hadamard_transform_kernel_traitsILi256ELi14EfEEv18HadamardParamsBase.has_dyn_sized_stack, 0
	.set _Z30fast_hadamard_transform_kernelI37fast_hadamard_transform_kernel_traitsILi256ELi14EfEEv18HadamardParamsBase.has_recursion, 0
	.set _Z30fast_hadamard_transform_kernelI37fast_hadamard_transform_kernel_traitsILi256ELi14EfEEv18HadamardParamsBase.has_indirect_call, 0
	.section	.AMDGPU.csdata,"",@progbits
; Kernel info:
; codeLenInByte = 16328
; TotalNumSgprs: 32
; NumVgprs: 152
; ScratchSize: 0
; MemoryBound: 0
; FloatMode: 240
; IeeeMode: 1
; LDSByteSize: 0 bytes/workgroup (compile time only)
; SGPRBlocks: 0
; VGPRBlocks: 18
; NumSGPRsForWavesPerEU: 32
; NumVGPRsForWavesPerEU: 152
; Occupancy: 6
; WaveLimiterHint : 0
; COMPUTE_PGM_RSRC2:SCRATCH_EN: 0
; COMPUTE_PGM_RSRC2:USER_SGPR: 6
; COMPUTE_PGM_RSRC2:TRAP_HANDLER: 0
; COMPUTE_PGM_RSRC2:TGID_X_EN: 1
; COMPUTE_PGM_RSRC2:TGID_Y_EN: 0
; COMPUTE_PGM_RSRC2:TGID_Z_EN: 0
; COMPUTE_PGM_RSRC2:TIDIG_COMP_CNT: 0
	.section	.text._Z30fast_hadamard_transform_kernelI37fast_hadamard_transform_kernel_traitsILi256ELi15EfEEv18HadamardParamsBase,"axG",@progbits,_Z30fast_hadamard_transform_kernelI37fast_hadamard_transform_kernel_traitsILi256ELi15EfEEv18HadamardParamsBase,comdat
	.protected	_Z30fast_hadamard_transform_kernelI37fast_hadamard_transform_kernel_traitsILi256ELi15EfEEv18HadamardParamsBase ; -- Begin function _Z30fast_hadamard_transform_kernelI37fast_hadamard_transform_kernel_traitsILi256ELi15EfEEv18HadamardParamsBase
	.globl	_Z30fast_hadamard_transform_kernelI37fast_hadamard_transform_kernel_traitsILi256ELi15EfEEv18HadamardParamsBase
	.p2align	8
	.type	_Z30fast_hadamard_transform_kernelI37fast_hadamard_transform_kernel_traitsILi256ELi15EfEEv18HadamardParamsBase,@function
_Z30fast_hadamard_transform_kernelI37fast_hadamard_transform_kernel_traitsILi256ELi15EfEEv18HadamardParamsBase: ; @_Z30fast_hadamard_transform_kernelI37fast_hadamard_transform_kernel_traitsILi256ELi15EfEEv18HadamardParamsBase
; %bb.0:
	s_clause 0x2
	s_load_dwordx4 s[44:47], s[4:5], 0x10
	s_load_dword s35, s[4:5], 0x4
	s_load_dwordx4 s[40:43], s[4:5], 0x28
	s_mov_b64 s[54:55], s[2:3]
	s_mov_b64 s[52:53], s[0:1]
	s_load_dword s0, s[4:5], 0x44
	s_add_u32 s52, s52, s7
	s_addc_u32 s53, s53, 0
	s_ashr_i32 s48, s6, 31
	v_lshlrev_b32_e32 v1, 2, v0
	v_mov_b32_e32 v117, 0
	v_mov_b32_e32 v125, 0
	v_mov_b32_e32 v126, 0
	v_mov_b32_e32 v127, 0
	v_lshlrev_b32_e32 v146, 4, v0
	v_mov_b32_e32 v128, 0
	s_waitcnt lgkmcnt(0)
	s_mul_hi_u32 s1, s44, s6
	s_mul_i32 s2, s44, s48
	s_mul_i32 s3, s45, s6
	s_add_i32 s1, s1, s2
	s_mul_i32 s2, s44, s6
	s_add_i32 s3, s1, s3
	v_cmp_gt_u32_e64 s33, s35, v1
	s_lshl_b64 s[2:3], s[2:3], 2
	s_add_u32 s36, s40, s2
	s_addc_u32 s37, s41, s3
	s_and_saveexec_b32 s1, s33
	s_cbranch_execz .LBB12_2
; %bb.1:
	global_load_dwordx4 v[125:128], v146, s[36:37]
.LBB12_2:
	s_or_b32 exec_lo, exec_lo, s1
	s_and_b32 s38, 0xffff, s0
	v_mov_b32_e32 v118, 0
	v_add_nc_u32_e32 v1, s38, v0
	v_mov_b32_e32 v119, 0
	v_mov_b32_e32 v120, 0
	v_lshlrev_b32_e32 v2, 2, v1
	v_lshlrev_b32_e32 v3, 4, v1
	v_cmp_gt_u32_e64 s31, s35, v2
	buffer_store_dword v3, off, s[52:55], 0 offset:212 ; 4-byte Folded Spill
	s_and_saveexec_b32 s0, s31
	s_cbranch_execz .LBB12_4
; %bb.3:
	v_lshlrev_b32_e32 v2, 4, v1
	global_load_dwordx4 v[117:120], v2, s[36:37]
.LBB12_4:
	s_or_b32 exec_lo, exec_lo, s0
	v_add_nc_u32_e32 v1, s38, v1
	v_mov_b32_e32 v113, 0
	v_mov_b32_e32 v121, 0
	v_mov_b32_e32 v122, 0
	v_mov_b32_e32 v123, 0
	v_lshlrev_b32_e32 v2, 2, v1
	v_lshlrev_b32_e32 v3, 4, v1
	v_mov_b32_e32 v124, 0
	v_cmp_gt_u32_e64 s30, s35, v2
	buffer_store_dword v3, off, s[52:55], 0 offset:208 ; 4-byte Folded Spill
	s_and_saveexec_b32 s0, s30
	s_cbranch_execz .LBB12_6
; %bb.5:
	v_lshlrev_b32_e32 v2, 4, v1
	global_load_dwordx4 v[121:124], v2, s[36:37]
.LBB12_6:
	s_or_b32 exec_lo, exec_lo, s0
	v_add_nc_u32_e32 v1, s38, v1
	v_mov_b32_e32 v114, 0
	v_mov_b32_e32 v115, 0
	v_mov_b32_e32 v116, 0
	v_lshlrev_b32_e32 v2, 2, v1
	v_lshlrev_b32_e32 v3, 4, v1
	v_cmp_gt_u32_e64 s29, s35, v2
	buffer_store_dword v3, off, s[52:55], 0 offset:204 ; 4-byte Folded Spill
	s_and_saveexec_b32 s0, s29
	s_cbranch_execz .LBB12_8
; %bb.7:
	v_lshlrev_b32_e32 v2, 4, v1
	global_load_dwordx4 v[113:116], v2, s[36:37]
.LBB12_8:
	s_or_b32 exec_lo, exec_lo, s0
	v_add_nc_u32_e32 v1, s38, v1
	v_mov_b32_e32 v105, 0
	v_mov_b32_e32 v109, 0
	v_mov_b32_e32 v110, 0
	v_mov_b32_e32 v111, 0
	v_lshlrev_b32_e32 v2, 2, v1
	v_lshlrev_b32_e32 v3, 4, v1
	v_mov_b32_e32 v112, 0
	v_cmp_gt_u32_e64 s28, s35, v2
	buffer_store_dword v3, off, s[52:55], 0 offset:200 ; 4-byte Folded Spill
	s_and_saveexec_b32 s0, s28
	s_cbranch_execz .LBB12_10
; %bb.9:
	v_lshlrev_b32_e32 v2, 4, v1
	global_load_dwordx4 v[109:112], v2, s[36:37]
.LBB12_10:
	s_or_b32 exec_lo, exec_lo, s0
	v_add_nc_u32_e32 v1, s38, v1
	v_mov_b32_e32 v106, 0
	;; [unrolled: 32-line block ×3, first 2 shown]
	v_mov_b32_e32 v99, 0
	v_mov_b32_e32 v100, 0
	v_lshlrev_b32_e32 v2, 2, v1
	v_lshlrev_b32_e32 v3, 4, v1
	v_cmp_gt_u32_e32 vcc_lo, s35, v2
	buffer_store_dword v3, off, s[52:55], 0 offset:160 ; 4-byte Folded Spill
	s_and_saveexec_b32 s0, vcc_lo
	s_cbranch_execz .LBB12_16
; %bb.15:
	v_lshlrev_b32_e32 v2, 4, v1
	global_load_dwordx4 v[97:100], v2, s[36:37]
.LBB12_16:
	s_or_b32 exec_lo, exec_lo, s0
	v_add_nc_u32_e32 v1, s38, v1
	v_mov_b32_e32 v89, 0
	v_mov_b32_e32 v93, 0
	;; [unrolled: 1-line block ×4, first 2 shown]
	v_lshlrev_b32_e32 v2, 2, v1
	v_lshlrev_b32_e32 v3, 4, v1
	v_mov_b32_e32 v96, 0
	v_cmp_gt_u32_e64 s7, s35, v2
	buffer_store_dword v3, off, s[52:55], 0 offset:164 ; 4-byte Folded Spill
	s_and_saveexec_b32 s0, s7
	s_cbranch_execz .LBB12_18
; %bb.17:
	v_lshlrev_b32_e32 v2, 4, v1
	global_load_dwordx4 v[93:96], v2, s[36:37]
.LBB12_18:
	s_or_b32 exec_lo, exec_lo, s0
	v_add_nc_u32_e32 v1, s38, v1
	v_mov_b32_e32 v90, 0
	v_mov_b32_e32 v91, 0
	;; [unrolled: 1-line block ×3, first 2 shown]
	v_lshlrev_b32_e32 v2, 2, v1
	v_lshlrev_b32_e32 v3, 4, v1
	v_cmp_gt_u32_e64 s12, s35, v2
	buffer_store_dword v3, off, s[52:55], 0 offset:168 ; 4-byte Folded Spill
	s_and_saveexec_b32 s0, s12
	s_cbranch_execz .LBB12_20
; %bb.19:
	v_lshlrev_b32_e32 v2, 4, v1
	global_load_dwordx4 v[89:92], v2, s[36:37]
.LBB12_20:
	s_or_b32 exec_lo, exec_lo, s0
	v_add_nc_u32_e32 v1, s38, v1
	v_mov_b32_e32 v81, 0
	v_mov_b32_e32 v85, 0
	;; [unrolled: 1-line block ×4, first 2 shown]
	v_lshlrev_b32_e32 v2, 2, v1
	v_lshlrev_b32_e32 v3, 4, v1
	v_mov_b32_e32 v88, 0
	v_cmp_gt_u32_e64 s22, s35, v2
	buffer_store_dword v3, off, s[52:55], 0 offset:180 ; 4-byte Folded Spill
	s_and_saveexec_b32 s0, s22
	s_cbranch_execz .LBB12_22
; %bb.21:
	v_lshlrev_b32_e32 v2, 4, v1
	global_load_dwordx4 v[85:88], v2, s[36:37]
.LBB12_22:
	s_or_b32 exec_lo, exec_lo, s0
	v_add_nc_u32_e32 v1, s38, v1
	v_mov_b32_e32 v82, 0
	v_mov_b32_e32 v83, 0
	;; [unrolled: 1-line block ×3, first 2 shown]
	v_lshlrev_b32_e32 v2, 2, v1
	v_lshlrev_b32_e32 v3, 4, v1
	v_cmp_gt_u32_e64 s23, s35, v2
	buffer_store_dword v3, off, s[52:55], 0 offset:184 ; 4-byte Folded Spill
	s_and_saveexec_b32 s0, s23
	s_cbranch_execz .LBB12_24
; %bb.23:
	v_lshlrev_b32_e32 v2, 4, v1
	global_load_dwordx4 v[81:84], v2, s[36:37]
.LBB12_24:
	s_or_b32 exec_lo, exec_lo, s0
	v_add_nc_u32_e32 v1, s38, v1
	v_mov_b32_e32 v73, 0
	v_mov_b32_e32 v77, 0
	;; [unrolled: 1-line block ×4, first 2 shown]
	v_lshlrev_b32_e32 v2, 2, v1
	v_lshlrev_b32_e32 v3, 4, v1
	v_mov_b32_e32 v80, 0
	v_cmp_gt_u32_e64 s25, s35, v2
	buffer_store_dword v3, off, s[52:55], 0 offset:192 ; 4-byte Folded Spill
	s_and_saveexec_b32 s0, s25
	s_cbranch_execz .LBB12_26
; %bb.25:
	v_lshlrev_b32_e32 v2, 4, v1
	global_load_dwordx4 v[77:80], v2, s[36:37]
.LBB12_26:
	s_or_b32 exec_lo, exec_lo, s0
	v_add_nc_u32_e32 v3, s38, v1
	v_mov_b32_e32 v74, 0
	v_mov_b32_e32 v75, 0
	;; [unrolled: 1-line block ×3, first 2 shown]
	v_lshlrev_b32_e32 v1, 2, v3
	v_cmp_gt_u32_e64 s26, s35, v1
	s_and_saveexec_b32 s1, s26
	s_cbranch_execz .LBB12_28
; %bb.27:
	v_mov_b32_e32 v4, 0
	v_lshlrev_b64 v[1:2], 4, v[3:4]
	v_add_co_u32 v1, s0, s36, v1
	v_add_co_ci_u32_e64 v2, null, s37, v2, s0
	global_load_dwordx4 v[73:76], v[1:2], off
.LBB12_28:
	s_or_b32 exec_lo, exec_lo, s1
	v_mov_b32_e32 v1, v3
	v_add_nc_u32_e32 v3, s38, v3
	v_mov_b32_e32 v61, 0
	v_mov_b32_e32 v69, 0
	v_mov_b32_e32 v70, 0
	buffer_store_dword v1, off, s[52:55], 0 offset:172 ; 4-byte Folded Spill
	buffer_store_dword v2, off, s[52:55], 0 offset:176 ; 4-byte Folded Spill
	v_lshlrev_b32_e32 v1, 2, v3
	v_mov_b32_e32 v71, 0
	v_mov_b32_e32 v72, 0
	v_cmp_gt_u32_e64 s19, s35, v1
	s_and_saveexec_b32 s1, s19
	s_cbranch_execz .LBB12_30
; %bb.29:
	v_mov_b32_e32 v4, 0
	v_lshlrev_b64 v[1:2], 4, v[3:4]
	v_add_co_u32 v1, s0, s36, v1
	v_add_co_ci_u32_e64 v2, null, s37, v2, s0
	global_load_dwordx4 v[69:72], v[1:2], off
.LBB12_30:
	s_or_b32 exec_lo, exec_lo, s1
	v_mov_b32_e32 v1, v3
	v_add_nc_u32_e32 v3, s38, v3
	v_mov_b32_e32 v62, 0
	v_mov_b32_e32 v63, 0
	v_mov_b32_e32 v64, 0
	buffer_store_dword v1, off, s[52:55], 0 offset:152 ; 4-byte Folded Spill
	buffer_store_dword v2, off, s[52:55], 0 offset:156 ; 4-byte Folded Spill
	v_lshlrev_b32_e32 v1, 2, v3
	v_cmp_gt_u32_e64 s0, s35, v1
	s_and_saveexec_b32 s2, s0
	s_cbranch_execz .LBB12_32
; %bb.31:
	v_mov_b32_e32 v4, 0
	v_lshlrev_b64 v[1:2], 4, v[3:4]
	v_add_co_u32 v1, s1, s36, v1
	v_add_co_ci_u32_e64 v2, null, s37, v2, s1
	global_load_dwordx4 v[61:64], v[1:2], off
.LBB12_32:
	s_or_b32 exec_lo, exec_lo, s2
	v_mov_b32_e32 v1, v3
	v_add_nc_u32_e32 v3, s38, v3
	v_mov_b32_e32 v53, 0
	v_mov_b32_e32 v65, 0
	v_mov_b32_e32 v66, 0
	buffer_store_dword v1, off, s[52:55], 0 offset:32 ; 4-byte Folded Spill
	buffer_store_dword v2, off, s[52:55], 0 offset:36 ; 4-byte Folded Spill
	v_lshlrev_b32_e32 v1, 2, v3
	v_mov_b32_e32 v67, 0
	v_mov_b32_e32 v68, 0
	v_cmp_gt_u32_e64 s1, s35, v1
	s_and_saveexec_b32 s3, s1
	s_cbranch_execz .LBB12_34
; %bb.33:
	v_mov_b32_e32 v4, 0
	v_lshlrev_b64 v[1:2], 4, v[3:4]
	v_add_co_u32 v1, s2, s36, v1
	v_add_co_ci_u32_e64 v2, null, s37, v2, s2
	global_load_dwordx4 v[65:68], v[1:2], off
.LBB12_34:
	s_or_b32 exec_lo, exec_lo, s3
	v_mov_b32_e32 v1, v3
	v_add_nc_u32_e32 v3, s38, v3
	v_mov_b32_e32 v54, 0
	v_mov_b32_e32 v55, 0
	v_mov_b32_e32 v56, 0
	buffer_store_dword v1, off, s[52:55], 0 offset:24 ; 4-byte Folded Spill
	buffer_store_dword v2, off, s[52:55], 0 offset:28 ; 4-byte Folded Spill
	;; [unrolled: 40-line block ×8, first 2 shown]
	v_lshlrev_b32_e32 v1, 2, v3
	v_cmp_gt_u32_e64 s18, s35, v1
	s_and_saveexec_b32 s21, s18
	s_cbranch_execz .LBB12_60
; %bb.59:
	v_mov_b32_e32 v4, 0
	v_lshlrev_b64 v[1:2], 4, v[3:4]
	v_add_co_u32 v1, s20, s36, v1
	v_add_co_ci_u32_e64 v2, null, s37, v2, s20
	global_load_dwordx4 v[5:8], v[1:2], off
.LBB12_60:
	s_or_b32 exec_lo, exec_lo, s21
	v_mov_b32_e32 v1, v3
	v_add_nc_u32_e32 v129, s38, v3
	v_mov_b32_e32 v9, 0
	v_mov_b32_e32 v10, 0
	;; [unrolled: 1-line block ×3, first 2 shown]
	buffer_store_dword v1, off, s[52:55], 0 offset:144 ; 4-byte Folded Spill
	buffer_store_dword v2, off, s[52:55], 0 offset:148 ; 4-byte Folded Spill
	v_lshlrev_b32_e32 v2, 2, v129
	v_mov_b32_e32 v1, 0
	v_mov_b32_e32 v12, 0
	v_cmp_gt_u32_e64 s20, s35, v2
	s_and_saveexec_b32 s39, s20
	s_cbranch_execz .LBB12_62
; %bb.61:
	v_mov_b32_e32 v130, 0
	v_lshlrev_b64 v[2:3], 4, v[129:130]
	v_add_co_u32 v2, s21, s36, v2
	v_add_co_ci_u32_e64 v3, null, s37, v3, s21
	global_load_dwordx4 v[9:12], v[2:3], off
.LBB12_62:
	s_or_b32 exec_lo, exec_lo, s39
	v_mov_b32_e32 v2, v129
	buffer_store_dword v2, off, s[52:55], 0 offset:136 ; 4-byte Folded Spill
	buffer_store_dword v3, off, s[52:55], 0 offset:140 ; 4-byte Folded Spill
	v_add_nc_u32_e32 v3, s38, v129
	v_mov_b32_e32 v2, v3
	buffer_store_dword v2, off, s[52:55], 0 ; 4-byte Folded Spill
	buffer_store_dword v3, off, s[52:55], 0 offset:4 ; 4-byte Folded Spill
	v_mov_b32_e32 v2, 0
	v_lshlrev_b32_e32 v4, 2, v3
	v_mov_b32_e32 v3, 0
	v_cmp_gt_u32_e64 s21, s35, v4
	v_mov_b32_e32 v4, 0
	s_and_saveexec_b32 s38, s21
	s_cbranch_execz .LBB12_64
; %bb.63:
	s_clause 0x1
	buffer_load_dword v1, off, s[52:55], 0
	buffer_load_dword v2, off, s[52:55], 0 offset:4
	v_mov_b32_e32 v3, 0
	s_waitcnt vmcnt(0)
	v_mov_b32_e32 v2, v1
	buffer_store_dword v1, off, s[52:55], 0 ; 4-byte Folded Spill
	buffer_store_dword v2, off, s[52:55], 0 offset:4 ; 4-byte Folded Spill
	v_lshlrev_b64 v[1:2], 4, v[2:3]
	v_add_co_u32 v1, s35, s36, v1
	v_add_co_ci_u32_e64 v2, null, s37, v2, s35
	global_load_dwordx4 v[1:4], v[1:2], off
.LBB12_64:
	s_or_b32 exec_lo, exec_lo, s38
	s_waitcnt vmcnt(0)
	v_add_f32_e32 v138, v125, v126
	v_sub_f32_e32 v136, v125, v126
	v_and_b32_e32 v125, 1, v0
	v_add_f32_e32 v144, v127, v128
	v_sub_f32_e32 v128, v127, v128
	s_waitcnt_vscnt null, 0x0
	s_barrier
	v_cmp_eq_u32_e64 s36, 0, v125
	v_mbcnt_lo_u32_b32 v125, -1, 0
	v_add_f32_e32 v126, v144, v138
	buffer_gl0_inv
	v_xor_b32_e32 v127, 1, v125
	v_xor_b32_e32 v129, 2, v125
	;; [unrolled: 1-line block ×3, first 2 shown]
	v_cmp_gt_i32_e64 s35, 32, v127
	v_cndmask_b32_e64 v127, v125, v127, s35
	v_cmp_gt_i32_e64 s35, 32, v129
	v_lshlrev_b32_e32 v134, 2, v127
	v_cndmask_b32_e64 v129, v125, v129, s35
	v_cmp_gt_i32_e64 s35, 32, v130
	ds_bpermute_b32 v127, v134, v126
	v_cndmask_b32_e64 v126, -v126, v126, s36
	v_cndmask_b32_e64 v131, v125, v130, s35
	v_xor_b32_e32 v130, 8, v125
	v_lshlrev_b32_e32 v132, 2, v131
	v_cmp_gt_i32_e64 s35, 32, v130
	v_cndmask_b32_e64 v133, v125, v130, s35
	v_xor_b32_e32 v130, 16, v125
	v_lshlrev_b32_e32 v140, 2, v133
	v_cmp_gt_i32_e64 s35, 32, v130
	s_waitcnt lgkmcnt(0)
	v_add_f32_e32 v126, v126, v127
	v_and_b32_e32 v127, 2, v0
	v_cndmask_b32_e64 v125, v125, v130, s35
	v_cmp_eq_u32_e64 s35, 0, v127
	v_add_f32_e32 v127, v136, v128
	v_sub_f32_e32 v128, v136, v128
	v_lshlrev_b32_e32 v142, 2, v125
	ds_bpermute_b32 v130, v134, v127
	v_cndmask_b32_e64 v127, -v127, v127, s36
	s_waitcnt lgkmcnt(0)
	v_add_f32_e32 v127, v127, v130
	v_lshlrev_b32_e32 v130, 2, v129
	ds_bpermute_b32 v129, v130, v126
	v_cndmask_b32_e64 v126, -v126, v126, s35
	s_waitcnt lgkmcnt(0)
	v_add_f32_e32 v126, v126, v129
	v_and_b32_e32 v129, 4, v0
	v_cmp_eq_u32_e64 s37, 0, v129
	ds_bpermute_b32 v129, v130, v127
	v_cndmask_b32_e64 v127, -v127, v127, s35
	s_waitcnt lgkmcnt(0)
	v_add_f32_e32 v127, v127, v129
	ds_bpermute_b32 v129, v132, v126
	v_cndmask_b32_e64 v126, -v126, v126, s37
	s_waitcnt lgkmcnt(0)
	v_add_f32_e32 v126, v126, v129
	v_and_b32_e32 v129, 8, v0
	v_cmp_eq_u32_e64 s38, 0, v129
	ds_bpermute_b32 v129, v132, v127
	v_cndmask_b32_e64 v127, -v127, v127, s37
	s_waitcnt lgkmcnt(0)
	v_add_f32_e32 v127, v127, v129
	ds_bpermute_b32 v129, v140, v126
	v_cndmask_b32_e64 v126, -v126, v126, s38
	s_waitcnt lgkmcnt(0)
	v_add_f32_e32 v126, v126, v129
	v_and_b32_e32 v129, 16, v0
	ds_bpermute_b32 v125, v142, v126
	v_cmp_eq_u32_e64 s39, 0, v129
	ds_bpermute_b32 v129, v140, v127
	v_cndmask_b32_e64 v127, -v127, v127, s38
	v_cndmask_b32_e64 v126, -v126, v126, s39
	s_waitcnt lgkmcnt(1)
	v_add_f32_e32 v125, v126, v125
	s_waitcnt lgkmcnt(0)
	v_add_f32_e32 v127, v127, v129
	ds_bpermute_b32 v129, v142, v127
	v_cndmask_b32_e64 v127, -v127, v127, s39
	s_waitcnt lgkmcnt(0)
	v_add_f32_e32 v126, v127, v129
	v_sub_f32_e32 v127, v138, v144
	ds_bpermute_b32 v129, v134, v127
	v_cndmask_b32_e64 v127, -v127, v127, s36
	s_waitcnt lgkmcnt(0)
	v_add_f32_e32 v127, v127, v129
	ds_bpermute_b32 v129, v130, v127
	v_cndmask_b32_e64 v127, -v127, v127, s35
	s_waitcnt lgkmcnt(0)
	v_add_f32_e32 v127, v127, v129
	;; [unrolled: 4-line block ×10, first 2 shown]
	v_lshrrev_b32_e32 v129, 5, v0
	v_xor_b32_e32 v129, v129, v0
	v_lshl_add_u32 v136, v129, 4, 0
	ds_write_b128 v136, v[125:128]
	v_add_f32_e32 v125, v117, v118
	v_add_f32_e32 v126, v119, v120
	v_sub_f32_e32 v127, v117, v118
	v_sub_f32_e32 v120, v119, v120
	v_add_f32_e32 v117, v126, v125
	ds_bpermute_b32 v118, v134, v117
	v_cndmask_b32_e64 v117, -v117, v117, s36
	s_waitcnt lgkmcnt(0)
	v_add_f32_e32 v117, v117, v118
	v_add_f32_e32 v118, v127, v120
	v_sub_f32_e32 v120, v127, v120
	ds_bpermute_b32 v119, v134, v118
	v_cndmask_b32_e64 v118, -v118, v118, s36
	s_waitcnt lgkmcnt(0)
	v_add_f32_e32 v118, v118, v119
	ds_bpermute_b32 v119, v130, v117
	v_cndmask_b32_e64 v117, -v117, v117, s35
	s_waitcnt lgkmcnt(0)
	v_add_f32_e32 v117, v117, v119
	;; [unrolled: 4-line block ×7, first 2 shown]
	ds_bpermute_b32 v119, v142, v117
	v_cndmask_b32_e64 v117, -v117, v117, s39
	ds_bpermute_b32 v128, v142, v118
	v_cndmask_b32_e64 v118, -v118, v118, s39
	s_waitcnt lgkmcnt(1)
	v_add_f32_e32 v117, v117, v119
	v_sub_f32_e32 v119, v125, v126
	s_waitcnt lgkmcnt(0)
	v_add_f32_e32 v118, v118, v128
	ds_bpermute_b32 v125, v134, v119
	v_cndmask_b32_e64 v119, -v119, v119, s36
	s_waitcnt lgkmcnt(0)
	v_add_f32_e32 v119, v119, v125
	ds_bpermute_b32 v125, v130, v119
	v_cndmask_b32_e64 v119, -v119, v119, s35
	;; [unrolled: 4-line block ×10, first 2 shown]
	s_waitcnt lgkmcnt(0)
	v_add_f32_e32 v120, v120, v125
	ds_write_b128 v136, v[117:120] offset:4096
	v_add_f32_e32 v119, v121, v122
	v_add_f32_e32 v120, v123, v124
	v_sub_f32_e32 v121, v121, v122
	v_sub_f32_e32 v122, v123, v124
	v_add_f32_e32 v117, v120, v119
	v_sub_f32_e32 v119, v119, v120
	ds_bpermute_b32 v118, v134, v117
	ds_bpermute_b32 v120, v134, v119
	v_cndmask_b32_e64 v119, -v119, v119, s36
	v_cndmask_b32_e64 v117, -v117, v117, s36
	s_waitcnt lgkmcnt(1)
	v_add_f32_e32 v117, v117, v118
	s_waitcnt lgkmcnt(0)
	v_add_f32_e32 v119, v119, v120
	v_add_f32_e32 v118, v121, v122
	ds_bpermute_b32 v120, v130, v119
	v_cndmask_b32_e64 v119, -v119, v119, s35
	ds_bpermute_b32 v123, v134, v118
	v_cndmask_b32_e64 v118, -v118, v118, s36
	s_waitcnt lgkmcnt(1)
	v_add_f32_e32 v119, v119, v120
	s_waitcnt lgkmcnt(0)
	v_add_f32_e32 v118, v118, v123
	ds_bpermute_b32 v123, v130, v117
	v_cndmask_b32_e64 v117, -v117, v117, s35
	ds_bpermute_b32 v120, v132, v119
	v_cndmask_b32_e64 v119, -v119, v119, s37
	s_waitcnt lgkmcnt(1)
	v_add_f32_e32 v117, v117, v123
	ds_bpermute_b32 v123, v130, v118
	s_waitcnt lgkmcnt(1)
	v_add_f32_e32 v119, v119, v120
	v_cndmask_b32_e64 v118, -v118, v118, s35
	ds_bpermute_b32 v120, v140, v119
	v_cndmask_b32_e64 v119, -v119, v119, s38
	s_waitcnt lgkmcnt(1)
	v_add_f32_e32 v118, v118, v123
	ds_bpermute_b32 v123, v132, v117
	v_cndmask_b32_e64 v117, -v117, v117, s37
	s_waitcnt lgkmcnt(1)
	v_add_f32_e32 v119, v119, v120
	;; [unrolled: 4-line block ×4, first 2 shown]
	v_sub_f32_e32 v120, v121, v122
	ds_bpermute_b32 v121, v134, v120
	v_cndmask_b32_e64 v120, -v120, v120, s36
	s_waitcnt lgkmcnt(1)
	v_add_f32_e32 v118, v118, v123
	ds_bpermute_b32 v123, v140, v117
	v_cndmask_b32_e64 v117, -v117, v117, s38
	s_waitcnt lgkmcnt(1)
	v_add_f32_e32 v120, v120, v121
	;; [unrolled: 4-line block ×4, first 2 shown]
	s_waitcnt lgkmcnt(0)
	v_add_f32_e32 v118, v118, v123
	ds_bpermute_b32 v123, v142, v117
	ds_bpermute_b32 v121, v132, v120
	v_cndmask_b32_e64 v120, -v120, v120, s37
	v_cndmask_b32_e64 v117, -v117, v117, s39
	ds_bpermute_b32 v124, v142, v118
	v_cndmask_b32_e64 v118, -v118, v118, s39
	s_waitcnt lgkmcnt(2)
	v_add_f32_e32 v117, v117, v123
	s_waitcnt lgkmcnt(1)
	v_add_f32_e32 v120, v120, v121
	s_waitcnt lgkmcnt(0)
	v_add_f32_e32 v118, v118, v124
	ds_bpermute_b32 v121, v140, v120
	v_cndmask_b32_e64 v120, -v120, v120, s38
	s_waitcnt lgkmcnt(0)
	v_add_f32_e32 v120, v120, v121
	ds_bpermute_b32 v121, v142, v120
	v_cndmask_b32_e64 v120, -v120, v120, s39
	s_waitcnt lgkmcnt(0)
	v_add_f32_e32 v120, v120, v121
	ds_write_b128 v136, v[117:120] offset:8192
	v_add_f32_e32 v117, v113, v114
	v_add_f32_e32 v118, v115, v116
	v_sub_f32_e32 v119, v113, v114
	v_sub_f32_e32 v116, v115, v116
	v_add_f32_e32 v113, v118, v117
	ds_bpermute_b32 v114, v134, v113
	v_cndmask_b32_e64 v113, -v113, v113, s36
	s_waitcnt lgkmcnt(0)
	v_add_f32_e32 v113, v113, v114
	v_add_f32_e32 v114, v119, v116
	v_sub_f32_e32 v116, v119, v116
	ds_bpermute_b32 v115, v134, v114
	v_cndmask_b32_e64 v114, -v114, v114, s36
	s_waitcnt lgkmcnt(0)
	v_add_f32_e32 v114, v114, v115
	ds_bpermute_b32 v115, v130, v113
	v_cndmask_b32_e64 v113, -v113, v113, s35
	s_waitcnt lgkmcnt(0)
	v_add_f32_e32 v113, v113, v115
	;; [unrolled: 4-line block ×7, first 2 shown]
	ds_bpermute_b32 v115, v142, v113
	v_cndmask_b32_e64 v113, -v113, v113, s39
	ds_bpermute_b32 v120, v142, v114
	v_cndmask_b32_e64 v114, -v114, v114, s39
	s_waitcnt lgkmcnt(1)
	v_add_f32_e32 v113, v113, v115
	v_sub_f32_e32 v115, v117, v118
	s_waitcnt lgkmcnt(0)
	v_add_f32_e32 v114, v114, v120
	ds_bpermute_b32 v117, v134, v115
	v_cndmask_b32_e64 v115, -v115, v115, s36
	s_waitcnt lgkmcnt(0)
	v_add_f32_e32 v115, v115, v117
	ds_bpermute_b32 v117, v130, v115
	v_cndmask_b32_e64 v115, -v115, v115, s35
	;; [unrolled: 4-line block ×10, first 2 shown]
	s_waitcnt lgkmcnt(0)
	v_add_f32_e32 v116, v116, v117
	ds_write_b128 v136, v[113:116] offset:12288
	v_add_f32_e32 v113, v109, v110
	v_add_f32_e32 v114, v111, v112
	v_sub_f32_e32 v115, v109, v110
	v_sub_f32_e32 v112, v111, v112
	v_add_f32_e32 v109, v114, v113
	ds_bpermute_b32 v110, v134, v109
	v_cndmask_b32_e64 v109, -v109, v109, s36
	s_waitcnt lgkmcnt(0)
	v_add_f32_e32 v109, v109, v110
	v_add_f32_e32 v110, v115, v112
	v_sub_f32_e32 v112, v115, v112
	ds_bpermute_b32 v111, v134, v110
	v_cndmask_b32_e64 v110, -v110, v110, s36
	s_waitcnt lgkmcnt(0)
	v_add_f32_e32 v110, v110, v111
	ds_bpermute_b32 v111, v130, v109
	v_cndmask_b32_e64 v109, -v109, v109, s35
	s_waitcnt lgkmcnt(0)
	v_add_f32_e32 v109, v109, v111
	;; [unrolled: 4-line block ×7, first 2 shown]
	ds_bpermute_b32 v111, v142, v109
	v_cndmask_b32_e64 v109, -v109, v109, s39
	ds_bpermute_b32 v116, v142, v110
	v_cndmask_b32_e64 v110, -v110, v110, s39
	s_waitcnt lgkmcnt(1)
	v_add_f32_e32 v109, v109, v111
	v_sub_f32_e32 v111, v113, v114
	s_waitcnt lgkmcnt(0)
	v_add_f32_e32 v110, v110, v116
	ds_bpermute_b32 v113, v134, v111
	v_cndmask_b32_e64 v111, -v111, v111, s36
	s_waitcnt lgkmcnt(0)
	v_add_f32_e32 v111, v111, v113
	ds_bpermute_b32 v113, v130, v111
	v_cndmask_b32_e64 v111, -v111, v111, s35
	;; [unrolled: 4-line block ×10, first 2 shown]
	s_waitcnt lgkmcnt(0)
	v_add_f32_e32 v112, v112, v113
	ds_write_b128 v136, v[109:112] offset:16384
	v_add_f32_e32 v109, v105, v106
	v_add_f32_e32 v110, v107, v108
	v_sub_f32_e32 v111, v105, v106
	v_sub_f32_e32 v108, v107, v108
	v_add_f32_e32 v105, v110, v109
	ds_bpermute_b32 v106, v134, v105
	v_cndmask_b32_e64 v105, -v105, v105, s36
	s_waitcnt lgkmcnt(0)
	v_add_f32_e32 v105, v105, v106
	v_add_f32_e32 v106, v111, v108
	v_sub_f32_e32 v108, v111, v108
	ds_bpermute_b32 v107, v134, v106
	v_cndmask_b32_e64 v106, -v106, v106, s36
	s_waitcnt lgkmcnt(0)
	v_add_f32_e32 v106, v106, v107
	ds_bpermute_b32 v107, v130, v105
	v_cndmask_b32_e64 v105, -v105, v105, s35
	s_waitcnt lgkmcnt(0)
	v_add_f32_e32 v105, v105, v107
	;; [unrolled: 4-line block ×7, first 2 shown]
	ds_bpermute_b32 v107, v142, v105
	v_cndmask_b32_e64 v105, -v105, v105, s39
	ds_bpermute_b32 v112, v142, v106
	v_cndmask_b32_e64 v106, -v106, v106, s39
	s_waitcnt lgkmcnt(1)
	v_add_f32_e32 v105, v105, v107
	v_sub_f32_e32 v107, v109, v110
	s_waitcnt lgkmcnt(0)
	v_add_f32_e32 v106, v106, v112
	ds_bpermute_b32 v109, v134, v107
	v_cndmask_b32_e64 v107, -v107, v107, s36
	s_waitcnt lgkmcnt(0)
	v_add_f32_e32 v107, v107, v109
	ds_bpermute_b32 v109, v130, v107
	v_cndmask_b32_e64 v107, -v107, v107, s35
	;; [unrolled: 4-line block ×10, first 2 shown]
	s_waitcnt lgkmcnt(0)
	v_add_f32_e32 v108, v108, v109
	ds_write_b128 v136, v[105:108] offset:20480
	v_add_f32_e32 v105, v101, v102
	v_add_f32_e32 v106, v103, v104
	v_sub_f32_e32 v107, v101, v102
	v_sub_f32_e32 v104, v103, v104
	v_add_f32_e32 v101, v106, v105
	ds_bpermute_b32 v102, v134, v101
	v_cndmask_b32_e64 v101, -v101, v101, s36
	s_waitcnt lgkmcnt(0)
	v_add_f32_e32 v101, v101, v102
	v_add_f32_e32 v102, v107, v104
	v_sub_f32_e32 v104, v107, v104
	ds_bpermute_b32 v103, v134, v102
	v_cndmask_b32_e64 v102, -v102, v102, s36
	s_waitcnt lgkmcnt(0)
	v_add_f32_e32 v102, v102, v103
	ds_bpermute_b32 v103, v130, v101
	v_cndmask_b32_e64 v101, -v101, v101, s35
	s_waitcnt lgkmcnt(0)
	v_add_f32_e32 v101, v101, v103
	;; [unrolled: 4-line block ×7, first 2 shown]
	ds_bpermute_b32 v103, v142, v101
	v_cndmask_b32_e64 v101, -v101, v101, s39
	ds_bpermute_b32 v108, v142, v102
	v_cndmask_b32_e64 v102, -v102, v102, s39
	s_waitcnt lgkmcnt(1)
	v_add_f32_e32 v101, v101, v103
	v_sub_f32_e32 v103, v105, v106
	s_waitcnt lgkmcnt(0)
	v_add_f32_e32 v102, v102, v108
	ds_bpermute_b32 v105, v134, v103
	v_cndmask_b32_e64 v103, -v103, v103, s36
	s_waitcnt lgkmcnt(0)
	v_add_f32_e32 v103, v103, v105
	ds_bpermute_b32 v105, v130, v103
	v_cndmask_b32_e64 v103, -v103, v103, s35
	s_waitcnt lgkmcnt(0)
	v_add_f32_e32 v103, v103, v105
	ds_bpermute_b32 v105, v132, v103
	v_cndmask_b32_e64 v103, -v103, v103, s37
	s_waitcnt lgkmcnt(0)
	v_add_f32_e32 v103, v103, v105
	ds_bpermute_b32 v105, v140, v103
	v_cndmask_b32_e64 v103, -v103, v103, s38
	s_waitcnt lgkmcnt(0)
	v_add_f32_e32 v103, v103, v105
	ds_bpermute_b32 v105, v142, v103
	v_cndmask_b32_e64 v103, -v103, v103, s39
	s_waitcnt lgkmcnt(0)
	v_add_f32_e32 v103, v103, v105
	ds_bpermute_b32 v105, v134, v104
	v_cndmask_b32_e64 v104, -v104, v104, s36
	s_waitcnt lgkmcnt(0)
	v_add_f32_e32 v104, v104, v105
	ds_bpermute_b32 v105, v130, v104
	v_cndmask_b32_e64 v104, -v104, v104, s35
	s_waitcnt lgkmcnt(0)
	v_add_f32_e32 v104, v104, v105
	ds_bpermute_b32 v105, v132, v104
	v_cndmask_b32_e64 v104, -v104, v104, s37
	s_waitcnt lgkmcnt(0)
	v_add_f32_e32 v104, v104, v105
	ds_bpermute_b32 v105, v140, v104
	v_cndmask_b32_e64 v104, -v104, v104, s38
	s_waitcnt lgkmcnt(0)
	v_add_f32_e32 v104, v104, v105
	ds_bpermute_b32 v105, v142, v104
	v_cndmask_b32_e64 v104, -v104, v104, s39
	s_waitcnt lgkmcnt(0)
	v_add_f32_e32 v104, v104, v105
	ds_write_b128 v136, v[101:104] offset:24576
	v_add_f32_e32 v101, v97, v98
	v_add_f32_e32 v102, v99, v100
	v_sub_f32_e32 v103, v97, v98
	v_sub_f32_e32 v100, v99, v100
	v_add_f32_e32 v97, v102, v101
	ds_bpermute_b32 v98, v134, v97
	v_cndmask_b32_e64 v97, -v97, v97, s36
	s_waitcnt lgkmcnt(0)
	v_add_f32_e32 v97, v97, v98
	v_add_f32_e32 v98, v103, v100
	v_sub_f32_e32 v100, v103, v100
	ds_bpermute_b32 v99, v134, v98
	v_cndmask_b32_e64 v98, -v98, v98, s36
	s_waitcnt lgkmcnt(0)
	v_add_f32_e32 v98, v98, v99
	ds_bpermute_b32 v99, v130, v97
	v_cndmask_b32_e64 v97, -v97, v97, s35
	s_waitcnt lgkmcnt(0)
	v_add_f32_e32 v97, v97, v99
	;; [unrolled: 4-line block ×7, first 2 shown]
	ds_bpermute_b32 v99, v142, v97
	v_cndmask_b32_e64 v97, -v97, v97, s39
	ds_bpermute_b32 v104, v142, v98
	v_cndmask_b32_e64 v98, -v98, v98, s39
	s_waitcnt lgkmcnt(1)
	v_add_f32_e32 v97, v97, v99
	v_sub_f32_e32 v99, v101, v102
	s_waitcnt lgkmcnt(0)
	v_add_f32_e32 v98, v98, v104
	ds_bpermute_b32 v101, v134, v99
	v_cndmask_b32_e64 v99, -v99, v99, s36
	s_waitcnt lgkmcnt(0)
	v_add_f32_e32 v99, v99, v101
	ds_bpermute_b32 v101, v130, v99
	v_cndmask_b32_e64 v99, -v99, v99, s35
	s_waitcnt lgkmcnt(0)
	v_add_f32_e32 v99, v99, v101
	ds_bpermute_b32 v101, v132, v99
	v_cndmask_b32_e64 v99, -v99, v99, s37
	s_waitcnt lgkmcnt(0)
	v_add_f32_e32 v99, v99, v101
	ds_bpermute_b32 v101, v140, v99
	v_cndmask_b32_e64 v99, -v99, v99, s38
	s_waitcnt lgkmcnt(0)
	v_add_f32_e32 v99, v99, v101
	ds_bpermute_b32 v101, v142, v99
	v_cndmask_b32_e64 v99, -v99, v99, s39
	s_waitcnt lgkmcnt(0)
	v_add_f32_e32 v99, v99, v101
	ds_bpermute_b32 v101, v134, v100
	v_cndmask_b32_e64 v100, -v100, v100, s36
	s_waitcnt lgkmcnt(0)
	v_add_f32_e32 v100, v100, v101
	ds_bpermute_b32 v101, v130, v100
	v_cndmask_b32_e64 v100, -v100, v100, s35
	s_waitcnt lgkmcnt(0)
	v_add_f32_e32 v100, v100, v101
	ds_bpermute_b32 v101, v132, v100
	v_cndmask_b32_e64 v100, -v100, v100, s37
	s_waitcnt lgkmcnt(0)
	v_add_f32_e32 v100, v100, v101
	ds_bpermute_b32 v101, v140, v100
	v_cndmask_b32_e64 v100, -v100, v100, s38
	s_waitcnt lgkmcnt(0)
	v_add_f32_e32 v100, v100, v101
	ds_bpermute_b32 v101, v142, v100
	v_cndmask_b32_e64 v100, -v100, v100, s39
	s_waitcnt lgkmcnt(0)
	v_add_f32_e32 v100, v100, v101
	ds_write_b128 v136, v[97:100] offset:28672
	v_add_f32_e32 v97, v93, v94
	v_add_f32_e32 v98, v95, v96
	v_sub_f32_e32 v93, v93, v94
	v_sub_f32_e32 v94, v95, v96
	s_waitcnt lgkmcnt(0)
	s_barrier
	v_add_f32_e32 v95, v98, v97
	buffer_gl0_inv
	ds_bpermute_b32 v96, v134, v95
	v_cndmask_b32_e64 v95, -v95, v95, s36
	s_waitcnt lgkmcnt(0)
	v_add_f32_e32 v95, v95, v96
	v_add_f32_e32 v96, v93, v94
	v_sub_f32_e32 v93, v93, v94
	ds_bpermute_b32 v99, v134, v96
	v_cndmask_b32_e64 v96, -v96, v96, s36
	ds_bpermute_b32 v94, v134, v93
	v_cndmask_b32_e64 v93, -v93, v93, s36
	s_waitcnt lgkmcnt(1)
	v_add_f32_e32 v96, v96, v99
	ds_bpermute_b32 v99, v130, v95
	v_cndmask_b32_e64 v95, -v95, v95, s35
	s_waitcnt lgkmcnt(1)
	v_add_f32_e32 v93, v93, v94
	;; [unrolled: 4-line block ×8, first 2 shown]
	ds_bpermute_b32 v94, v142, v93
	s_waitcnt lgkmcnt(1)
	v_add_f32_e32 v96, v96, v99
	ds_bpermute_b32 v99, v140, v95
	v_cndmask_b32_e64 v95, -v95, v95, s38
	v_cndmask_b32_e64 v93, -v93, v93, s39
	s_waitcnt lgkmcnt(1)
	v_add_f32_e32 v128, v93, v94
	v_and_b32_e32 v93, 7, v0
	s_waitcnt lgkmcnt(0)
	v_add_f32_e32 v95, v95, v99
	ds_bpermute_b32 v99, v140, v96
	v_cndmask_b32_e64 v96, -v96, v96, s38
	v_lshrrev_b32_e32 v0, 3, v0
	v_lshl_or_b32 v0, v93, 5, v0
	v_xor_b32_e32 v0, v0, v93
	v_lshl_add_u32 v138, v0, 4, 0
	v_add_f32_e32 v0, v89, v90
	s_waitcnt lgkmcnt(0)
	v_add_f32_e32 v96, v96, v99
	ds_bpermute_b32 v99, v142, v95
	v_cndmask_b32_e64 v95, -v95, v95, s39
	ds_bpermute_b32 v100, v142, v96
	v_cndmask_b32_e64 v96, -v96, v96, s39
	s_waitcnt lgkmcnt(1)
	v_add_f32_e32 v125, v95, v99
	v_sub_f32_e32 v95, v97, v98
	s_waitcnt lgkmcnt(0)
	v_add_f32_e32 v126, v96, v100
	ds_bpermute_b32 v96, v134, v95
	v_cndmask_b32_e64 v95, -v95, v95, s36
	s_waitcnt lgkmcnt(0)
	v_add_f32_e32 v95, v95, v96
	ds_bpermute_b32 v96, v130, v95
	v_cndmask_b32_e64 v95, -v95, v95, s35
	;; [unrolled: 4-line block ×5, first 2 shown]
	s_waitcnt lgkmcnt(0)
	v_add_f32_e32 v127, v95, v96
	ds_read_b128 v[121:124], v138
	ds_read_b128 v[117:120], v138 offset:4096
	ds_read_b128 v[113:116], v138 offset:8192
	;; [unrolled: 1-line block ×7, first 2 shown]
	s_waitcnt lgkmcnt(0)
	s_barrier
	buffer_gl0_inv
	ds_write_b128 v136, v[125:128]
	v_add_f32_e32 v125, v91, v92
	v_sub_f32_e32 v126, v89, v90
	v_sub_f32_e32 v92, v91, v92
	v_add_f32_e32 v89, v125, v0
	v_sub_f32_e32 v0, v0, v125
	ds_bpermute_b32 v90, v134, v89
	v_cndmask_b32_e64 v89, -v89, v89, s36
	s_waitcnt lgkmcnt(0)
	v_add_f32_e32 v89, v89, v90
	v_add_f32_e32 v90, v126, v92
	ds_bpermute_b32 v91, v134, v90
	v_cndmask_b32_e64 v90, -v90, v90, s36
	s_waitcnt lgkmcnt(0)
	v_add_f32_e32 v90, v90, v91
	ds_bpermute_b32 v91, v130, v89
	v_cndmask_b32_e64 v89, -v89, v89, s35
	s_waitcnt lgkmcnt(0)
	;; [unrolled: 4-line block ×7, first 2 shown]
	v_add_f32_e32 v90, v90, v91
	ds_bpermute_b32 v91, v142, v89
	v_cndmask_b32_e64 v89, -v89, v89, s39
	ds_bpermute_b32 v127, v142, v90
	v_cndmask_b32_e64 v90, -v90, v90, s39
	s_waitcnt lgkmcnt(1)
	v_add_f32_e32 v89, v89, v91
	ds_bpermute_b32 v91, v134, v0
	v_cndmask_b32_e64 v0, -v0, v0, s36
	s_waitcnt lgkmcnt(1)
	v_add_f32_e32 v90, v90, v127
	s_waitcnt lgkmcnt(0)
	v_add_f32_e32 v0, v0, v91
	ds_bpermute_b32 v91, v130, v0
	v_cndmask_b32_e64 v0, -v0, v0, s35
	s_waitcnt lgkmcnt(0)
	v_add_f32_e32 v0, v0, v91
	ds_bpermute_b32 v91, v132, v0
	v_cndmask_b32_e64 v0, -v0, v0, s37
	;; [unrolled: 4-line block ×4, first 2 shown]
	s_waitcnt lgkmcnt(0)
	v_add_f32_e32 v91, v0, v91
	v_sub_f32_e32 v0, v126, v92
	ds_bpermute_b32 v92, v134, v0
	v_cndmask_b32_e64 v0, -v0, v0, s36
	s_waitcnt lgkmcnt(0)
	v_add_f32_e32 v0, v0, v92
	ds_bpermute_b32 v92, v130, v0
	v_cndmask_b32_e64 v0, -v0, v0, s35
	s_waitcnt lgkmcnt(0)
	v_add_f32_e32 v0, v0, v92
	;; [unrolled: 4-line block ×5, first 2 shown]
	v_add_f32_e32 v0, v85, v86
	ds_write_b128 v136, v[89:92] offset:4096
	v_add_f32_e32 v89, v87, v88
	v_sub_f32_e32 v90, v85, v86
	v_sub_f32_e32 v88, v87, v88
	v_add_f32_e32 v85, v89, v0
	v_sub_f32_e32 v0, v0, v89
	ds_bpermute_b32 v86, v134, v85
	v_cndmask_b32_e64 v85, -v85, v85, s36
	s_waitcnt lgkmcnt(0)
	v_add_f32_e32 v85, v85, v86
	v_add_f32_e32 v86, v90, v88
	ds_bpermute_b32 v87, v134, v86
	v_cndmask_b32_e64 v86, -v86, v86, s36
	s_waitcnt lgkmcnt(0)
	v_add_f32_e32 v86, v86, v87
	ds_bpermute_b32 v87, v130, v85
	v_cndmask_b32_e64 v85, -v85, v85, s35
	s_waitcnt lgkmcnt(0)
	v_add_f32_e32 v85, v85, v87
	ds_bpermute_b32 v87, v130, v86
	v_cndmask_b32_e64 v86, -v86, v86, s35
	s_waitcnt lgkmcnt(0)
	v_add_f32_e32 v86, v86, v87
	ds_bpermute_b32 v87, v132, v85
	v_cndmask_b32_e64 v85, -v85, v85, s37
	s_waitcnt lgkmcnt(0)
	v_add_f32_e32 v85, v85, v87
	ds_bpermute_b32 v87, v132, v86
	v_cndmask_b32_e64 v86, -v86, v86, s37
	s_waitcnt lgkmcnt(0)
	v_add_f32_e32 v86, v86, v87
	ds_bpermute_b32 v87, v140, v85
	v_cndmask_b32_e64 v85, -v85, v85, s38
	s_waitcnt lgkmcnt(0)
	v_add_f32_e32 v85, v85, v87
	ds_bpermute_b32 v87, v140, v86
	v_cndmask_b32_e64 v86, -v86, v86, s38
	s_waitcnt lgkmcnt(0)
	v_add_f32_e32 v86, v86, v87
	ds_bpermute_b32 v87, v142, v85
	v_cndmask_b32_e64 v85, -v85, v85, s39
	ds_bpermute_b32 v91, v142, v86
	v_cndmask_b32_e64 v86, -v86, v86, s39
	s_waitcnt lgkmcnt(1)
	v_add_f32_e32 v85, v85, v87
	ds_bpermute_b32 v87, v134, v0
	v_cndmask_b32_e64 v0, -v0, v0, s36
	s_waitcnt lgkmcnt(1)
	v_add_f32_e32 v86, v86, v91
	s_waitcnt lgkmcnt(0)
	v_add_f32_e32 v0, v0, v87
	ds_bpermute_b32 v87, v130, v0
	v_cndmask_b32_e64 v0, -v0, v0, s35
	s_waitcnt lgkmcnt(0)
	v_add_f32_e32 v0, v0, v87
	ds_bpermute_b32 v87, v132, v0
	v_cndmask_b32_e64 v0, -v0, v0, s37
	;; [unrolled: 4-line block ×4, first 2 shown]
	s_waitcnt lgkmcnt(0)
	v_add_f32_e32 v87, v0, v87
	v_sub_f32_e32 v0, v90, v88
	ds_bpermute_b32 v88, v134, v0
	v_cndmask_b32_e64 v0, -v0, v0, s36
	s_waitcnt lgkmcnt(0)
	v_add_f32_e32 v0, v0, v88
	ds_bpermute_b32 v88, v130, v0
	v_cndmask_b32_e64 v0, -v0, v0, s35
	s_waitcnt lgkmcnt(0)
	v_add_f32_e32 v0, v0, v88
	;; [unrolled: 4-line block ×5, first 2 shown]
	v_add_f32_e32 v0, v81, v82
	ds_write_b128 v136, v[85:88] offset:8192
	v_add_f32_e32 v85, v83, v84
	v_sub_f32_e32 v86, v81, v82
	v_sub_f32_e32 v84, v83, v84
	v_add_f32_e32 v81, v85, v0
	v_sub_f32_e32 v0, v0, v85
	ds_bpermute_b32 v82, v134, v81
	v_cndmask_b32_e64 v81, -v81, v81, s36
	s_waitcnt lgkmcnt(0)
	v_add_f32_e32 v81, v81, v82
	v_add_f32_e32 v82, v86, v84
	ds_bpermute_b32 v83, v134, v82
	v_cndmask_b32_e64 v82, -v82, v82, s36
	s_waitcnt lgkmcnt(0)
	v_add_f32_e32 v82, v82, v83
	ds_bpermute_b32 v83, v130, v81
	v_cndmask_b32_e64 v81, -v81, v81, s35
	s_waitcnt lgkmcnt(0)
	;; [unrolled: 4-line block ×7, first 2 shown]
	v_add_f32_e32 v82, v82, v83
	ds_bpermute_b32 v83, v142, v81
	v_cndmask_b32_e64 v81, -v81, v81, s39
	ds_bpermute_b32 v87, v142, v82
	v_cndmask_b32_e64 v82, -v82, v82, s39
	s_waitcnt lgkmcnt(1)
	v_add_f32_e32 v81, v81, v83
	ds_bpermute_b32 v83, v134, v0
	v_cndmask_b32_e64 v0, -v0, v0, s36
	s_waitcnt lgkmcnt(1)
	v_add_f32_e32 v82, v82, v87
	s_waitcnt lgkmcnt(0)
	v_add_f32_e32 v0, v0, v83
	ds_bpermute_b32 v83, v130, v0
	v_cndmask_b32_e64 v0, -v0, v0, s35
	s_waitcnt lgkmcnt(0)
	v_add_f32_e32 v0, v0, v83
	ds_bpermute_b32 v83, v132, v0
	v_cndmask_b32_e64 v0, -v0, v0, s37
	;; [unrolled: 4-line block ×4, first 2 shown]
	s_waitcnt lgkmcnt(0)
	v_add_f32_e32 v83, v0, v83
	v_sub_f32_e32 v0, v86, v84
	ds_bpermute_b32 v84, v134, v0
	v_cndmask_b32_e64 v0, -v0, v0, s36
	s_waitcnt lgkmcnt(0)
	v_add_f32_e32 v0, v0, v84
	ds_bpermute_b32 v84, v130, v0
	v_cndmask_b32_e64 v0, -v0, v0, s35
	s_waitcnt lgkmcnt(0)
	v_add_f32_e32 v0, v0, v84
	;; [unrolled: 4-line block ×5, first 2 shown]
	v_add_f32_e32 v0, v77, v78
	ds_write_b128 v136, v[81:84] offset:12288
	v_add_f32_e32 v81, v79, v80
	v_sub_f32_e32 v82, v77, v78
	v_sub_f32_e32 v80, v79, v80
	v_add_f32_e32 v77, v81, v0
	v_sub_f32_e32 v0, v0, v81
	ds_bpermute_b32 v78, v134, v77
	v_cndmask_b32_e64 v77, -v77, v77, s36
	s_waitcnt lgkmcnt(0)
	v_add_f32_e32 v77, v77, v78
	v_add_f32_e32 v78, v82, v80
	ds_bpermute_b32 v79, v134, v78
	v_cndmask_b32_e64 v78, -v78, v78, s36
	s_waitcnt lgkmcnt(0)
	v_add_f32_e32 v78, v78, v79
	ds_bpermute_b32 v79, v130, v77
	v_cndmask_b32_e64 v77, -v77, v77, s35
	s_waitcnt lgkmcnt(0)
	;; [unrolled: 4-line block ×7, first 2 shown]
	v_add_f32_e32 v78, v78, v79
	ds_bpermute_b32 v79, v142, v77
	v_cndmask_b32_e64 v77, -v77, v77, s39
	ds_bpermute_b32 v83, v142, v78
	v_cndmask_b32_e64 v78, -v78, v78, s39
	s_waitcnt lgkmcnt(1)
	v_add_f32_e32 v77, v77, v79
	ds_bpermute_b32 v79, v134, v0
	v_cndmask_b32_e64 v0, -v0, v0, s36
	s_waitcnt lgkmcnt(1)
	v_add_f32_e32 v78, v78, v83
	s_waitcnt lgkmcnt(0)
	v_add_f32_e32 v0, v0, v79
	ds_bpermute_b32 v79, v130, v0
	v_cndmask_b32_e64 v0, -v0, v0, s35
	s_waitcnt lgkmcnt(0)
	v_add_f32_e32 v0, v0, v79
	ds_bpermute_b32 v79, v132, v0
	v_cndmask_b32_e64 v0, -v0, v0, s37
	s_waitcnt lgkmcnt(0)
	v_add_f32_e32 v0, v0, v79
	ds_bpermute_b32 v79, v140, v0
	v_cndmask_b32_e64 v0, -v0, v0, s38
	s_waitcnt lgkmcnt(0)
	v_add_f32_e32 v0, v0, v79
	ds_bpermute_b32 v79, v142, v0
	v_cndmask_b32_e64 v0, -v0, v0, s39
	s_waitcnt lgkmcnt(0)
	v_add_f32_e32 v79, v0, v79
	v_sub_f32_e32 v0, v82, v80
	ds_bpermute_b32 v80, v134, v0
	v_cndmask_b32_e64 v0, -v0, v0, s36
	s_waitcnt lgkmcnt(0)
	v_add_f32_e32 v0, v0, v80
	ds_bpermute_b32 v80, v130, v0
	v_cndmask_b32_e64 v0, -v0, v0, s35
	s_waitcnt lgkmcnt(0)
	v_add_f32_e32 v0, v0, v80
	;; [unrolled: 4-line block ×5, first 2 shown]
	v_add_f32_e32 v0, v73, v74
	ds_write_b128 v136, v[77:80] offset:16384
	v_add_f32_e32 v77, v75, v76
	v_sub_f32_e32 v78, v73, v74
	v_sub_f32_e32 v76, v75, v76
	v_add_f32_e32 v73, v77, v0
	v_sub_f32_e32 v0, v0, v77
	ds_bpermute_b32 v74, v134, v73
	v_cndmask_b32_e64 v73, -v73, v73, s36
	s_waitcnt lgkmcnt(0)
	v_add_f32_e32 v73, v73, v74
	v_add_f32_e32 v74, v78, v76
	ds_bpermute_b32 v75, v134, v74
	v_cndmask_b32_e64 v74, -v74, v74, s36
	s_waitcnt lgkmcnt(0)
	v_add_f32_e32 v74, v74, v75
	ds_bpermute_b32 v75, v130, v73
	v_cndmask_b32_e64 v73, -v73, v73, s35
	s_waitcnt lgkmcnt(0)
	;; [unrolled: 4-line block ×7, first 2 shown]
	v_add_f32_e32 v74, v74, v75
	ds_bpermute_b32 v75, v142, v73
	v_cndmask_b32_e64 v73, -v73, v73, s39
	ds_bpermute_b32 v79, v142, v74
	v_cndmask_b32_e64 v74, -v74, v74, s39
	s_waitcnt lgkmcnt(1)
	v_add_f32_e32 v73, v73, v75
	ds_bpermute_b32 v75, v134, v0
	v_cndmask_b32_e64 v0, -v0, v0, s36
	s_waitcnt lgkmcnt(1)
	v_add_f32_e32 v74, v74, v79
	s_waitcnt lgkmcnt(0)
	v_add_f32_e32 v0, v0, v75
	ds_bpermute_b32 v75, v130, v0
	v_cndmask_b32_e64 v0, -v0, v0, s35
	s_waitcnt lgkmcnt(0)
	v_add_f32_e32 v0, v0, v75
	ds_bpermute_b32 v75, v132, v0
	v_cndmask_b32_e64 v0, -v0, v0, s37
	;; [unrolled: 4-line block ×4, first 2 shown]
	s_waitcnt lgkmcnt(0)
	v_add_f32_e32 v75, v0, v75
	v_sub_f32_e32 v0, v78, v76
	ds_bpermute_b32 v76, v134, v0
	v_cndmask_b32_e64 v0, -v0, v0, s36
	s_waitcnt lgkmcnt(0)
	v_add_f32_e32 v0, v0, v76
	ds_bpermute_b32 v76, v130, v0
	v_cndmask_b32_e64 v0, -v0, v0, s35
	s_waitcnt lgkmcnt(0)
	v_add_f32_e32 v0, v0, v76
	;; [unrolled: 4-line block ×5, first 2 shown]
	v_add_f32_e32 v0, v69, v70
	ds_write_b128 v136, v[73:76] offset:20480
	v_add_f32_e32 v73, v71, v72
	v_sub_f32_e32 v74, v69, v70
	v_sub_f32_e32 v72, v71, v72
	v_add_f32_e32 v69, v73, v0
	v_sub_f32_e32 v0, v0, v73
	ds_bpermute_b32 v70, v134, v69
	v_cndmask_b32_e64 v69, -v69, v69, s36
	s_waitcnt lgkmcnt(0)
	v_add_f32_e32 v69, v69, v70
	v_add_f32_e32 v70, v74, v72
	ds_bpermute_b32 v71, v134, v70
	v_cndmask_b32_e64 v70, -v70, v70, s36
	s_waitcnt lgkmcnt(0)
	v_add_f32_e32 v70, v70, v71
	ds_bpermute_b32 v71, v130, v69
	v_cndmask_b32_e64 v69, -v69, v69, s35
	s_waitcnt lgkmcnt(0)
	;; [unrolled: 4-line block ×7, first 2 shown]
	v_add_f32_e32 v70, v70, v71
	ds_bpermute_b32 v71, v142, v69
	v_cndmask_b32_e64 v69, -v69, v69, s39
	ds_bpermute_b32 v75, v142, v70
	v_cndmask_b32_e64 v70, -v70, v70, s39
	s_waitcnt lgkmcnt(1)
	v_add_f32_e32 v69, v69, v71
	ds_bpermute_b32 v71, v134, v0
	v_cndmask_b32_e64 v0, -v0, v0, s36
	s_waitcnt lgkmcnt(1)
	v_add_f32_e32 v70, v70, v75
	s_waitcnt lgkmcnt(0)
	v_add_f32_e32 v0, v0, v71
	ds_bpermute_b32 v71, v130, v0
	v_cndmask_b32_e64 v0, -v0, v0, s35
	s_waitcnt lgkmcnt(0)
	v_add_f32_e32 v0, v0, v71
	ds_bpermute_b32 v71, v132, v0
	v_cndmask_b32_e64 v0, -v0, v0, s37
	;; [unrolled: 4-line block ×4, first 2 shown]
	s_waitcnt lgkmcnt(0)
	v_add_f32_e32 v71, v0, v71
	v_sub_f32_e32 v0, v74, v72
	ds_bpermute_b32 v72, v134, v0
	v_cndmask_b32_e64 v0, -v0, v0, s36
	s_waitcnt lgkmcnt(0)
	v_add_f32_e32 v0, v0, v72
	ds_bpermute_b32 v72, v130, v0
	v_cndmask_b32_e64 v0, -v0, v0, s35
	s_waitcnt lgkmcnt(0)
	v_add_f32_e32 v0, v0, v72
	;; [unrolled: 4-line block ×5, first 2 shown]
	v_add_f32_e32 v0, v61, v62
	ds_write_b128 v136, v[69:72] offset:24576
	v_add_f32_e32 v69, v63, v64
	v_sub_f32_e32 v70, v61, v62
	v_sub_f32_e32 v64, v63, v64
	v_add_f32_e32 v61, v69, v0
	v_sub_f32_e32 v0, v0, v69
	ds_bpermute_b32 v62, v134, v61
	v_cndmask_b32_e64 v61, -v61, v61, s36
	s_waitcnt lgkmcnt(0)
	v_add_f32_e32 v61, v61, v62
	v_add_f32_e32 v62, v70, v64
	ds_bpermute_b32 v63, v134, v62
	v_cndmask_b32_e64 v62, -v62, v62, s36
	s_waitcnt lgkmcnt(0)
	v_add_f32_e32 v62, v62, v63
	ds_bpermute_b32 v63, v130, v61
	v_cndmask_b32_e64 v61, -v61, v61, s35
	s_waitcnt lgkmcnt(0)
	;; [unrolled: 4-line block ×7, first 2 shown]
	v_add_f32_e32 v62, v62, v63
	ds_bpermute_b32 v63, v142, v61
	v_cndmask_b32_e64 v61, -v61, v61, s39
	ds_bpermute_b32 v71, v142, v62
	v_cndmask_b32_e64 v62, -v62, v62, s39
	s_waitcnt lgkmcnt(1)
	v_add_f32_e32 v61, v61, v63
	ds_bpermute_b32 v63, v134, v0
	v_cndmask_b32_e64 v0, -v0, v0, s36
	s_waitcnt lgkmcnt(1)
	v_add_f32_e32 v62, v62, v71
	s_waitcnt lgkmcnt(0)
	v_add_f32_e32 v0, v0, v63
	ds_bpermute_b32 v63, v130, v0
	v_cndmask_b32_e64 v0, -v0, v0, s35
	s_waitcnt lgkmcnt(0)
	v_add_f32_e32 v0, v0, v63
	ds_bpermute_b32 v63, v132, v0
	v_cndmask_b32_e64 v0, -v0, v0, s37
	;; [unrolled: 4-line block ×4, first 2 shown]
	s_waitcnt lgkmcnt(0)
	v_add_f32_e32 v63, v0, v63
	v_sub_f32_e32 v0, v70, v64
	ds_bpermute_b32 v64, v134, v0
	v_cndmask_b32_e64 v0, -v0, v0, s36
	s_waitcnt lgkmcnt(0)
	v_add_f32_e32 v0, v0, v64
	ds_bpermute_b32 v64, v130, v0
	v_cndmask_b32_e64 v0, -v0, v0, s35
	s_waitcnt lgkmcnt(0)
	v_add_f32_e32 v0, v0, v64
	;; [unrolled: 4-line block ×5, first 2 shown]
	v_add_f32_e32 v0, v65, v66
	ds_write_b128 v136, v[61:64] offset:28672
	v_add_f32_e32 v61, v67, v68
	v_sub_f32_e32 v62, v65, v66
	v_sub_f32_e32 v63, v67, v68
	s_waitcnt lgkmcnt(0)
	s_barrier
	v_add_f32_e32 v64, v61, v0
	v_sub_f32_e32 v0, v0, v61
	buffer_gl0_inv
	ds_bpermute_b32 v65, v134, v64
	ds_bpermute_b32 v61, v134, v0
	v_cndmask_b32_e64 v0, -v0, v0, s36
	v_cndmask_b32_e64 v64, -v64, v64, s36
	s_waitcnt lgkmcnt(1)
	v_add_f32_e32 v64, v64, v65
	s_waitcnt lgkmcnt(0)
	v_add_f32_e32 v0, v0, v61
	v_add_f32_e32 v65, v62, v63
	ds_bpermute_b32 v61, v130, v0
	v_cndmask_b32_e64 v0, -v0, v0, s35
	ds_bpermute_b32 v66, v134, v65
	v_cndmask_b32_e64 v65, -v65, v65, s36
	s_waitcnt lgkmcnt(1)
	v_add_f32_e32 v0, v0, v61
	s_waitcnt lgkmcnt(0)
	v_add_f32_e32 v65, v65, v66
	ds_bpermute_b32 v66, v130, v64
	v_cndmask_b32_e64 v64, -v64, v64, s35
	ds_bpermute_b32 v61, v132, v0
	v_cndmask_b32_e64 v0, -v0, v0, s37
	s_waitcnt lgkmcnt(1)
	v_add_f32_e32 v64, v64, v66
	ds_bpermute_b32 v66, v130, v65
	s_waitcnt lgkmcnt(1)
	v_add_f32_e32 v0, v0, v61
	v_cndmask_b32_e64 v65, -v65, v65, s35
	ds_bpermute_b32 v61, v140, v0
	v_cndmask_b32_e64 v0, -v0, v0, s38
	s_waitcnt lgkmcnt(1)
	v_add_f32_e32 v65, v65, v66
	ds_bpermute_b32 v66, v132, v64
	v_cndmask_b32_e64 v64, -v64, v64, s37
	s_waitcnt lgkmcnt(1)
	v_add_f32_e32 v0, v0, v61
	;; [unrolled: 4-line block ×4, first 2 shown]
	v_sub_f32_e32 v0, v62, v63
	ds_bpermute_b32 v61, v134, v0
	v_cndmask_b32_e64 v0, -v0, v0, s36
	s_waitcnt lgkmcnt(1)
	v_add_f32_e32 v65, v65, v66
	ds_bpermute_b32 v66, v140, v64
	v_cndmask_b32_e64 v64, -v64, v64, s38
	s_waitcnt lgkmcnt(1)
	v_add_f32_e32 v0, v0, v61
	;; [unrolled: 4-line block ×4, first 2 shown]
	s_waitcnt lgkmcnt(0)
	v_add_f32_e32 v65, v65, v66
	ds_bpermute_b32 v66, v142, v64
	ds_bpermute_b32 v61, v132, v0
	v_cndmask_b32_e64 v0, -v0, v0, s37
	v_cndmask_b32_e64 v64, -v64, v64, s39
	ds_bpermute_b32 v67, v142, v65
	v_cndmask_b32_e64 v65, -v65, v65, s39
	s_waitcnt lgkmcnt(2)
	v_add_f32_e32 v125, v64, v66
	s_waitcnt lgkmcnt(1)
	v_add_f32_e32 v0, v0, v61
	;; [unrolled: 2-line block ×3, first 2 shown]
	ds_bpermute_b32 v61, v140, v0
	v_cndmask_b32_e64 v0, -v0, v0, s38
	s_waitcnt lgkmcnt(0)
	v_add_f32_e32 v0, v0, v61
	ds_bpermute_b32 v61, v142, v0
	v_cndmask_b32_e64 v0, -v0, v0, s39
	s_waitcnt lgkmcnt(0)
	v_add_f32_e32 v128, v0, v61
	ds_read_b128 v[89:92], v138
	ds_read_b128 v[85:88], v138 offset:4096
	ds_read_b128 v[81:84], v138 offset:8192
	;; [unrolled: 1-line block ×7, first 2 shown]
	s_waitcnt lgkmcnt(0)
	s_barrier
	buffer_gl0_inv
	ds_write_b128 v136, v[125:128]
	v_add_f32_e32 v0, v53, v54
	v_add_f32_e32 v125, v55, v56
	v_sub_f32_e32 v126, v53, v54
	v_sub_f32_e32 v56, v55, v56
	v_add_f32_e32 v53, v125, v0
	v_sub_f32_e32 v0, v0, v125
	ds_bpermute_b32 v54, v134, v53
	v_cndmask_b32_e64 v53, -v53, v53, s36
	s_waitcnt lgkmcnt(0)
	v_add_f32_e32 v53, v53, v54
	v_add_f32_e32 v54, v126, v56
	ds_bpermute_b32 v55, v134, v54
	v_cndmask_b32_e64 v54, -v54, v54, s36
	s_waitcnt lgkmcnt(0)
	v_add_f32_e32 v54, v54, v55
	ds_bpermute_b32 v55, v130, v53
	v_cndmask_b32_e64 v53, -v53, v53, s35
	s_waitcnt lgkmcnt(0)
	;; [unrolled: 4-line block ×7, first 2 shown]
	v_add_f32_e32 v54, v54, v55
	ds_bpermute_b32 v55, v142, v53
	v_cndmask_b32_e64 v53, -v53, v53, s39
	ds_bpermute_b32 v127, v142, v54
	v_cndmask_b32_e64 v54, -v54, v54, s39
	s_waitcnt lgkmcnt(1)
	v_add_f32_e32 v53, v53, v55
	ds_bpermute_b32 v55, v134, v0
	v_cndmask_b32_e64 v0, -v0, v0, s36
	s_waitcnt lgkmcnt(1)
	v_add_f32_e32 v54, v54, v127
	s_waitcnt lgkmcnt(0)
	v_add_f32_e32 v0, v0, v55
	ds_bpermute_b32 v55, v130, v0
	v_cndmask_b32_e64 v0, -v0, v0, s35
	s_waitcnt lgkmcnt(0)
	v_add_f32_e32 v0, v0, v55
	ds_bpermute_b32 v55, v132, v0
	v_cndmask_b32_e64 v0, -v0, v0, s37
	;; [unrolled: 4-line block ×4, first 2 shown]
	s_waitcnt lgkmcnt(0)
	v_add_f32_e32 v55, v0, v55
	v_sub_f32_e32 v0, v126, v56
	ds_bpermute_b32 v56, v134, v0
	v_cndmask_b32_e64 v0, -v0, v0, s36
	s_waitcnt lgkmcnt(0)
	v_add_f32_e32 v0, v0, v56
	ds_bpermute_b32 v56, v130, v0
	v_cndmask_b32_e64 v0, -v0, v0, s35
	s_waitcnt lgkmcnt(0)
	v_add_f32_e32 v0, v0, v56
	;; [unrolled: 4-line block ×5, first 2 shown]
	v_add_f32_e32 v0, v57, v58
	ds_write_b128 v136, v[53:56] offset:4096
	v_add_f32_e32 v55, v59, v60
	v_sub_f32_e32 v56, v57, v58
	v_sub_f32_e32 v57, v59, v60
	v_add_f32_e32 v53, v55, v0
	v_sub_f32_e32 v0, v0, v55
	ds_bpermute_b32 v54, v134, v53
	ds_bpermute_b32 v55, v134, v0
	v_cndmask_b32_e64 v0, -v0, v0, s36
	v_cndmask_b32_e64 v53, -v53, v53, s36
	s_waitcnt lgkmcnt(1)
	v_add_f32_e32 v53, v53, v54
	s_waitcnt lgkmcnt(0)
	v_add_f32_e32 v0, v0, v55
	v_add_f32_e32 v54, v56, v57
	ds_bpermute_b32 v55, v130, v0
	v_cndmask_b32_e64 v0, -v0, v0, s35
	ds_bpermute_b32 v58, v134, v54
	v_cndmask_b32_e64 v54, -v54, v54, s36
	s_waitcnt lgkmcnt(1)
	v_add_f32_e32 v0, v0, v55
	s_waitcnt lgkmcnt(0)
	v_add_f32_e32 v54, v54, v58
	ds_bpermute_b32 v58, v130, v53
	v_cndmask_b32_e64 v53, -v53, v53, s35
	ds_bpermute_b32 v55, v132, v0
	v_cndmask_b32_e64 v0, -v0, v0, s37
	s_waitcnt lgkmcnt(1)
	v_add_f32_e32 v53, v53, v58
	ds_bpermute_b32 v58, v130, v54
	s_waitcnt lgkmcnt(1)
	v_add_f32_e32 v0, v0, v55
	v_cndmask_b32_e64 v54, -v54, v54, s35
	ds_bpermute_b32 v55, v140, v0
	v_cndmask_b32_e64 v0, -v0, v0, s38
	s_waitcnt lgkmcnt(1)
	v_add_f32_e32 v54, v54, v58
	ds_bpermute_b32 v58, v132, v53
	v_cndmask_b32_e64 v53, -v53, v53, s37
	s_waitcnt lgkmcnt(1)
	v_add_f32_e32 v0, v0, v55
	;; [unrolled: 4-line block ×4, first 2 shown]
	v_sub_f32_e32 v0, v56, v57
	ds_bpermute_b32 v56, v134, v0
	v_cndmask_b32_e64 v0, -v0, v0, s36
	s_waitcnt lgkmcnt(1)
	v_add_f32_e32 v54, v54, v58
	ds_bpermute_b32 v58, v140, v53
	v_cndmask_b32_e64 v53, -v53, v53, s38
	s_waitcnt lgkmcnt(1)
	v_add_f32_e32 v0, v0, v56
	;; [unrolled: 4-line block ×4, first 2 shown]
	s_waitcnt lgkmcnt(0)
	v_add_f32_e32 v54, v54, v58
	ds_bpermute_b32 v58, v142, v53
	ds_bpermute_b32 v56, v132, v0
	v_cndmask_b32_e64 v0, -v0, v0, s37
	v_cndmask_b32_e64 v53, -v53, v53, s39
	ds_bpermute_b32 v59, v142, v54
	v_cndmask_b32_e64 v54, -v54, v54, s39
	s_waitcnt lgkmcnt(2)
	v_add_f32_e32 v53, v53, v58
	s_waitcnt lgkmcnt(1)
	v_add_f32_e32 v0, v0, v56
	;; [unrolled: 2-line block ×3, first 2 shown]
	ds_bpermute_b32 v56, v140, v0
	v_cndmask_b32_e64 v0, -v0, v0, s38
	s_waitcnt lgkmcnt(0)
	v_add_f32_e32 v0, v0, v56
	ds_bpermute_b32 v56, v142, v0
	v_cndmask_b32_e64 v0, -v0, v0, s39
	s_waitcnt lgkmcnt(0)
	v_add_f32_e32 v56, v0, v56
	v_add_f32_e32 v0, v45, v46
	ds_write_b128 v136, v[53:56] offset:8192
	v_add_f32_e32 v53, v47, v48
	v_sub_f32_e32 v54, v45, v46
	v_sub_f32_e32 v48, v47, v48
	v_add_f32_e32 v45, v53, v0
	v_sub_f32_e32 v0, v0, v53
	ds_bpermute_b32 v46, v134, v45
	v_cndmask_b32_e64 v45, -v45, v45, s36
	s_waitcnt lgkmcnt(0)
	v_add_f32_e32 v45, v45, v46
	v_add_f32_e32 v46, v54, v48
	ds_bpermute_b32 v47, v134, v46
	v_cndmask_b32_e64 v46, -v46, v46, s36
	s_waitcnt lgkmcnt(0)
	v_add_f32_e32 v46, v46, v47
	ds_bpermute_b32 v47, v130, v45
	v_cndmask_b32_e64 v45, -v45, v45, s35
	s_waitcnt lgkmcnt(0)
	v_add_f32_e32 v45, v45, v47
	ds_bpermute_b32 v47, v130, v46
	v_cndmask_b32_e64 v46, -v46, v46, s35
	s_waitcnt lgkmcnt(0)
	v_add_f32_e32 v46, v46, v47
	ds_bpermute_b32 v47, v132, v45
	v_cndmask_b32_e64 v45, -v45, v45, s37
	s_waitcnt lgkmcnt(0)
	v_add_f32_e32 v45, v45, v47
	ds_bpermute_b32 v47, v132, v46
	v_cndmask_b32_e64 v46, -v46, v46, s37
	s_waitcnt lgkmcnt(0)
	v_add_f32_e32 v46, v46, v47
	ds_bpermute_b32 v47, v140, v45
	v_cndmask_b32_e64 v45, -v45, v45, s38
	s_waitcnt lgkmcnt(0)
	v_add_f32_e32 v45, v45, v47
	ds_bpermute_b32 v47, v140, v46
	v_cndmask_b32_e64 v46, -v46, v46, s38
	s_waitcnt lgkmcnt(0)
	v_add_f32_e32 v46, v46, v47
	ds_bpermute_b32 v47, v142, v45
	v_cndmask_b32_e64 v45, -v45, v45, s39
	ds_bpermute_b32 v55, v142, v46
	v_cndmask_b32_e64 v46, -v46, v46, s39
	s_waitcnt lgkmcnt(1)
	v_add_f32_e32 v45, v45, v47
	ds_bpermute_b32 v47, v134, v0
	v_cndmask_b32_e64 v0, -v0, v0, s36
	s_waitcnt lgkmcnt(1)
	v_add_f32_e32 v46, v46, v55
	s_waitcnt lgkmcnt(0)
	v_add_f32_e32 v0, v0, v47
	ds_bpermute_b32 v47, v130, v0
	v_cndmask_b32_e64 v0, -v0, v0, s35
	s_waitcnt lgkmcnt(0)
	v_add_f32_e32 v0, v0, v47
	ds_bpermute_b32 v47, v132, v0
	v_cndmask_b32_e64 v0, -v0, v0, s37
	;; [unrolled: 4-line block ×4, first 2 shown]
	s_waitcnt lgkmcnt(0)
	v_add_f32_e32 v47, v0, v47
	v_sub_f32_e32 v0, v54, v48
	ds_bpermute_b32 v48, v134, v0
	v_cndmask_b32_e64 v0, -v0, v0, s36
	s_waitcnt lgkmcnt(0)
	v_add_f32_e32 v0, v0, v48
	ds_bpermute_b32 v48, v130, v0
	v_cndmask_b32_e64 v0, -v0, v0, s35
	s_waitcnt lgkmcnt(0)
	v_add_f32_e32 v0, v0, v48
	;; [unrolled: 4-line block ×5, first 2 shown]
	v_add_f32_e32 v0, v49, v50
	ds_write_b128 v136, v[45:48] offset:12288
	v_add_f32_e32 v47, v51, v52
	v_sub_f32_e32 v48, v49, v50
	v_sub_f32_e32 v49, v51, v52
	v_add_f32_e32 v45, v47, v0
	v_sub_f32_e32 v0, v0, v47
	ds_bpermute_b32 v46, v134, v45
	ds_bpermute_b32 v47, v134, v0
	v_cndmask_b32_e64 v0, -v0, v0, s36
	v_cndmask_b32_e64 v45, -v45, v45, s36
	s_waitcnt lgkmcnt(1)
	v_add_f32_e32 v45, v45, v46
	s_waitcnt lgkmcnt(0)
	v_add_f32_e32 v0, v0, v47
	v_add_f32_e32 v46, v48, v49
	ds_bpermute_b32 v47, v130, v0
	v_cndmask_b32_e64 v0, -v0, v0, s35
	ds_bpermute_b32 v50, v134, v46
	v_cndmask_b32_e64 v46, -v46, v46, s36
	s_waitcnt lgkmcnt(1)
	v_add_f32_e32 v0, v0, v47
	s_waitcnt lgkmcnt(0)
	v_add_f32_e32 v46, v46, v50
	ds_bpermute_b32 v50, v130, v45
	v_cndmask_b32_e64 v45, -v45, v45, s35
	ds_bpermute_b32 v47, v132, v0
	v_cndmask_b32_e64 v0, -v0, v0, s37
	s_waitcnt lgkmcnt(1)
	v_add_f32_e32 v45, v45, v50
	ds_bpermute_b32 v50, v130, v46
	s_waitcnt lgkmcnt(1)
	v_add_f32_e32 v0, v0, v47
	v_cndmask_b32_e64 v46, -v46, v46, s35
	ds_bpermute_b32 v47, v140, v0
	v_cndmask_b32_e64 v0, -v0, v0, s38
	s_waitcnt lgkmcnt(1)
	v_add_f32_e32 v46, v46, v50
	ds_bpermute_b32 v50, v132, v45
	v_cndmask_b32_e64 v45, -v45, v45, s37
	s_waitcnt lgkmcnt(1)
	v_add_f32_e32 v0, v0, v47
	;; [unrolled: 4-line block ×4, first 2 shown]
	v_sub_f32_e32 v0, v48, v49
	ds_bpermute_b32 v48, v134, v0
	v_cndmask_b32_e64 v0, -v0, v0, s36
	s_waitcnt lgkmcnt(1)
	v_add_f32_e32 v46, v46, v50
	ds_bpermute_b32 v50, v140, v45
	v_cndmask_b32_e64 v45, -v45, v45, s38
	s_waitcnt lgkmcnt(1)
	v_add_f32_e32 v0, v0, v48
	;; [unrolled: 4-line block ×4, first 2 shown]
	s_waitcnt lgkmcnt(0)
	v_add_f32_e32 v46, v46, v50
	ds_bpermute_b32 v50, v142, v45
	ds_bpermute_b32 v48, v132, v0
	v_cndmask_b32_e64 v0, -v0, v0, s37
	v_cndmask_b32_e64 v45, -v45, v45, s39
	ds_bpermute_b32 v51, v142, v46
	v_cndmask_b32_e64 v46, -v46, v46, s39
	s_waitcnt lgkmcnt(2)
	v_add_f32_e32 v45, v45, v50
	s_waitcnt lgkmcnt(1)
	v_add_f32_e32 v0, v0, v48
	;; [unrolled: 2-line block ×3, first 2 shown]
	ds_bpermute_b32 v48, v140, v0
	v_cndmask_b32_e64 v0, -v0, v0, s38
	s_waitcnt lgkmcnt(0)
	v_add_f32_e32 v0, v0, v48
	ds_bpermute_b32 v48, v142, v0
	v_cndmask_b32_e64 v0, -v0, v0, s39
	s_waitcnt lgkmcnt(0)
	v_add_f32_e32 v48, v0, v48
	v_add_f32_e32 v0, v37, v38
	ds_write_b128 v136, v[45:48] offset:16384
	v_add_f32_e32 v45, v39, v40
	v_sub_f32_e32 v46, v37, v38
	v_sub_f32_e32 v40, v39, v40
	v_add_f32_e32 v37, v45, v0
	v_sub_f32_e32 v0, v0, v45
	ds_bpermute_b32 v38, v134, v37
	v_cndmask_b32_e64 v37, -v37, v37, s36
	s_waitcnt lgkmcnt(0)
	v_add_f32_e32 v37, v37, v38
	v_add_f32_e32 v38, v46, v40
	ds_bpermute_b32 v39, v134, v38
	v_cndmask_b32_e64 v38, -v38, v38, s36
	s_waitcnt lgkmcnt(0)
	v_add_f32_e32 v38, v38, v39
	ds_bpermute_b32 v39, v130, v37
	v_cndmask_b32_e64 v37, -v37, v37, s35
	s_waitcnt lgkmcnt(0)
	;; [unrolled: 4-line block ×7, first 2 shown]
	v_add_f32_e32 v38, v38, v39
	ds_bpermute_b32 v39, v142, v37
	v_cndmask_b32_e64 v37, -v37, v37, s39
	ds_bpermute_b32 v47, v142, v38
	v_cndmask_b32_e64 v38, -v38, v38, s39
	s_waitcnt lgkmcnt(1)
	v_add_f32_e32 v37, v37, v39
	ds_bpermute_b32 v39, v134, v0
	v_cndmask_b32_e64 v0, -v0, v0, s36
	s_waitcnt lgkmcnt(1)
	v_add_f32_e32 v38, v38, v47
	s_waitcnt lgkmcnt(0)
	v_add_f32_e32 v0, v0, v39
	ds_bpermute_b32 v39, v130, v0
	v_cndmask_b32_e64 v0, -v0, v0, s35
	s_waitcnt lgkmcnt(0)
	v_add_f32_e32 v0, v0, v39
	ds_bpermute_b32 v39, v132, v0
	v_cndmask_b32_e64 v0, -v0, v0, s37
	;; [unrolled: 4-line block ×4, first 2 shown]
	s_waitcnt lgkmcnt(0)
	v_add_f32_e32 v39, v0, v39
	v_sub_f32_e32 v0, v46, v40
	ds_bpermute_b32 v40, v134, v0
	v_cndmask_b32_e64 v0, -v0, v0, s36
	s_waitcnt lgkmcnt(0)
	v_add_f32_e32 v0, v0, v40
	ds_bpermute_b32 v40, v130, v0
	v_cndmask_b32_e64 v0, -v0, v0, s35
	s_waitcnt lgkmcnt(0)
	v_add_f32_e32 v0, v0, v40
	;; [unrolled: 4-line block ×5, first 2 shown]
	v_add_f32_e32 v0, v41, v42
	ds_write_b128 v136, v[37:40] offset:20480
	v_add_f32_e32 v39, v43, v44
	v_sub_f32_e32 v40, v41, v42
	v_sub_f32_e32 v41, v43, v44
	v_add_f32_e32 v37, v39, v0
	v_sub_f32_e32 v0, v0, v39
	ds_bpermute_b32 v38, v134, v37
	ds_bpermute_b32 v39, v134, v0
	v_cndmask_b32_e64 v0, -v0, v0, s36
	v_cndmask_b32_e64 v37, -v37, v37, s36
	s_waitcnt lgkmcnt(1)
	v_add_f32_e32 v37, v37, v38
	s_waitcnt lgkmcnt(0)
	v_add_f32_e32 v0, v0, v39
	v_add_f32_e32 v38, v40, v41
	ds_bpermute_b32 v39, v130, v0
	v_cndmask_b32_e64 v0, -v0, v0, s35
	ds_bpermute_b32 v42, v134, v38
	v_cndmask_b32_e64 v38, -v38, v38, s36
	s_waitcnt lgkmcnt(1)
	v_add_f32_e32 v0, v0, v39
	s_waitcnt lgkmcnt(0)
	v_add_f32_e32 v38, v38, v42
	ds_bpermute_b32 v42, v130, v37
	v_cndmask_b32_e64 v37, -v37, v37, s35
	ds_bpermute_b32 v39, v132, v0
	v_cndmask_b32_e64 v0, -v0, v0, s37
	s_waitcnt lgkmcnt(1)
	v_add_f32_e32 v37, v37, v42
	ds_bpermute_b32 v42, v130, v38
	s_waitcnt lgkmcnt(1)
	v_add_f32_e32 v0, v0, v39
	v_cndmask_b32_e64 v38, -v38, v38, s35
	ds_bpermute_b32 v39, v140, v0
	v_cndmask_b32_e64 v0, -v0, v0, s38
	s_waitcnt lgkmcnt(1)
	v_add_f32_e32 v38, v38, v42
	ds_bpermute_b32 v42, v132, v37
	v_cndmask_b32_e64 v37, -v37, v37, s37
	s_waitcnt lgkmcnt(1)
	v_add_f32_e32 v0, v0, v39
	;; [unrolled: 4-line block ×4, first 2 shown]
	v_sub_f32_e32 v0, v40, v41
	ds_bpermute_b32 v40, v134, v0
	v_cndmask_b32_e64 v0, -v0, v0, s36
	s_waitcnt lgkmcnt(1)
	v_add_f32_e32 v38, v38, v42
	ds_bpermute_b32 v42, v140, v37
	v_cndmask_b32_e64 v37, -v37, v37, s38
	s_waitcnt lgkmcnt(1)
	v_add_f32_e32 v0, v0, v40
	;; [unrolled: 4-line block ×4, first 2 shown]
	s_waitcnt lgkmcnt(0)
	v_add_f32_e32 v38, v38, v42
	ds_bpermute_b32 v42, v142, v37
	ds_bpermute_b32 v40, v132, v0
	v_cndmask_b32_e64 v0, -v0, v0, s37
	v_cndmask_b32_e64 v37, -v37, v37, s39
	ds_bpermute_b32 v43, v142, v38
	v_cndmask_b32_e64 v38, -v38, v38, s39
	s_waitcnt lgkmcnt(2)
	v_add_f32_e32 v37, v37, v42
	s_waitcnt lgkmcnt(1)
	v_add_f32_e32 v0, v0, v40
	;; [unrolled: 2-line block ×3, first 2 shown]
	ds_bpermute_b32 v40, v140, v0
	v_cndmask_b32_e64 v0, -v0, v0, s38
	s_waitcnt lgkmcnt(0)
	v_add_f32_e32 v0, v0, v40
	ds_bpermute_b32 v40, v142, v0
	v_cndmask_b32_e64 v0, -v0, v0, s39
	s_waitcnt lgkmcnt(0)
	v_add_f32_e32 v40, v0, v40
	v_add_f32_e32 v0, v29, v30
	ds_write_b128 v136, v[37:40] offset:24576
	v_add_f32_e32 v37, v31, v32
	v_sub_f32_e32 v38, v29, v30
	v_sub_f32_e32 v32, v31, v32
	v_add_f32_e32 v29, v37, v0
	v_sub_f32_e32 v0, v0, v37
	ds_bpermute_b32 v30, v134, v29
	v_cndmask_b32_e64 v29, -v29, v29, s36
	s_waitcnt lgkmcnt(0)
	v_add_f32_e32 v29, v29, v30
	v_add_f32_e32 v30, v38, v32
	ds_bpermute_b32 v31, v134, v30
	v_cndmask_b32_e64 v30, -v30, v30, s36
	s_waitcnt lgkmcnt(0)
	v_add_f32_e32 v30, v30, v31
	ds_bpermute_b32 v31, v130, v29
	v_cndmask_b32_e64 v29, -v29, v29, s35
	s_waitcnt lgkmcnt(0)
	;; [unrolled: 4-line block ×7, first 2 shown]
	v_add_f32_e32 v30, v30, v31
	ds_bpermute_b32 v31, v142, v29
	v_cndmask_b32_e64 v29, -v29, v29, s39
	ds_bpermute_b32 v39, v142, v30
	v_cndmask_b32_e64 v30, -v30, v30, s39
	s_waitcnt lgkmcnt(1)
	v_add_f32_e32 v29, v29, v31
	ds_bpermute_b32 v31, v134, v0
	v_cndmask_b32_e64 v0, -v0, v0, s36
	s_waitcnt lgkmcnt(1)
	v_add_f32_e32 v30, v30, v39
	s_waitcnt lgkmcnt(0)
	v_add_f32_e32 v0, v0, v31
	ds_bpermute_b32 v31, v130, v0
	v_cndmask_b32_e64 v0, -v0, v0, s35
	s_waitcnt lgkmcnt(0)
	v_add_f32_e32 v0, v0, v31
	ds_bpermute_b32 v31, v132, v0
	v_cndmask_b32_e64 v0, -v0, v0, s37
	;; [unrolled: 4-line block ×4, first 2 shown]
	s_waitcnt lgkmcnt(0)
	v_add_f32_e32 v31, v0, v31
	v_sub_f32_e32 v0, v38, v32
	ds_bpermute_b32 v32, v134, v0
	v_cndmask_b32_e64 v0, -v0, v0, s36
	s_waitcnt lgkmcnt(0)
	v_add_f32_e32 v0, v0, v32
	ds_bpermute_b32 v32, v130, v0
	v_cndmask_b32_e64 v0, -v0, v0, s35
	s_waitcnt lgkmcnt(0)
	v_add_f32_e32 v0, v0, v32
	;; [unrolled: 4-line block ×5, first 2 shown]
	v_add_f32_e32 v0, v33, v34
	ds_write_b128 v136, v[29:32] offset:28672
	v_add_f32_e32 v29, v35, v36
	v_sub_f32_e32 v30, v33, v34
	v_sub_f32_e32 v31, v35, v36
	s_waitcnt lgkmcnt(0)
	s_barrier
	v_add_f32_e32 v32, v29, v0
	v_sub_f32_e32 v0, v0, v29
	buffer_gl0_inv
	ds_bpermute_b32 v33, v134, v32
	ds_bpermute_b32 v29, v134, v0
	v_cndmask_b32_e64 v0, -v0, v0, s36
	v_cndmask_b32_e64 v32, -v32, v32, s36
	s_waitcnt lgkmcnt(1)
	v_add_f32_e32 v32, v32, v33
	s_waitcnt lgkmcnt(0)
	v_add_f32_e32 v0, v0, v29
	v_add_f32_e32 v33, v30, v31
	ds_bpermute_b32 v29, v130, v0
	v_cndmask_b32_e64 v0, -v0, v0, s35
	ds_bpermute_b32 v34, v134, v33
	v_cndmask_b32_e64 v33, -v33, v33, s36
	s_waitcnt lgkmcnt(1)
	v_add_f32_e32 v0, v0, v29
	s_waitcnt lgkmcnt(0)
	v_add_f32_e32 v33, v33, v34
	ds_bpermute_b32 v34, v130, v32
	v_cndmask_b32_e64 v32, -v32, v32, s35
	ds_bpermute_b32 v29, v132, v0
	v_cndmask_b32_e64 v0, -v0, v0, s37
	s_waitcnt lgkmcnt(1)
	v_add_f32_e32 v32, v32, v34
	ds_bpermute_b32 v34, v130, v33
	s_waitcnt lgkmcnt(1)
	v_add_f32_e32 v0, v0, v29
	v_cndmask_b32_e64 v33, -v33, v33, s35
	ds_bpermute_b32 v29, v140, v0
	v_cndmask_b32_e64 v0, -v0, v0, s38
	s_waitcnt lgkmcnt(1)
	v_add_f32_e32 v33, v33, v34
	ds_bpermute_b32 v34, v132, v32
	v_cndmask_b32_e64 v32, -v32, v32, s37
	s_waitcnt lgkmcnt(1)
	v_add_f32_e32 v0, v0, v29
	ds_bpermute_b32 v29, v142, v0
	v_cndmask_b32_e64 v0, -v0, v0, s39
	s_waitcnt lgkmcnt(1)
	v_add_f32_e32 v32, v32, v34
	ds_bpermute_b32 v34, v132, v33
	v_cndmask_b32_e64 v33, -v33, v33, s37
	s_waitcnt lgkmcnt(1)
	v_add_f32_e32 v127, v0, v29
	v_sub_f32_e32 v0, v30, v31
	ds_bpermute_b32 v29, v134, v0
	v_cndmask_b32_e64 v0, -v0, v0, s36
	s_waitcnt lgkmcnt(1)
	v_add_f32_e32 v33, v33, v34
	ds_bpermute_b32 v34, v140, v32
	v_cndmask_b32_e64 v32, -v32, v32, s38
	s_waitcnt lgkmcnt(1)
	v_add_f32_e32 v0, v0, v29
	;; [unrolled: 4-line block ×4, first 2 shown]
	s_waitcnt lgkmcnt(0)
	v_add_f32_e32 v33, v33, v34
	ds_bpermute_b32 v34, v142, v32
	ds_bpermute_b32 v29, v132, v0
	v_cndmask_b32_e64 v0, -v0, v0, s37
	v_cndmask_b32_e64 v32, -v32, v32, s39
	ds_bpermute_b32 v35, v142, v33
	v_cndmask_b32_e64 v33, -v33, v33, s39
	s_waitcnt lgkmcnt(2)
	v_add_f32_e32 v125, v32, v34
	s_waitcnt lgkmcnt(1)
	v_add_f32_e32 v0, v0, v29
	;; [unrolled: 2-line block ×3, first 2 shown]
	ds_bpermute_b32 v29, v140, v0
	v_cndmask_b32_e64 v0, -v0, v0, s38
	s_waitcnt lgkmcnt(0)
	v_add_f32_e32 v0, v0, v29
	ds_bpermute_b32 v29, v142, v0
	v_cndmask_b32_e64 v0, -v0, v0, s39
	s_waitcnt lgkmcnt(0)
	v_add_f32_e32 v128, v0, v29
	ds_read_b128 v[57:60], v138
	ds_read_b128 v[53:56], v138 offset:4096
	ds_read_b128 v[49:52], v138 offset:8192
	;; [unrolled: 1-line block ×7, first 2 shown]
	s_waitcnt lgkmcnt(0)
	s_barrier
	buffer_gl0_inv
	ds_write_b128 v136, v[125:128]
	v_add_f32_e32 v0, v21, v22
	v_add_f32_e32 v125, v23, v24
	v_sub_f32_e32 v126, v21, v22
	v_sub_f32_e32 v24, v23, v24
	v_add_f32_e32 v21, v125, v0
	v_sub_f32_e32 v0, v0, v125
	ds_bpermute_b32 v22, v134, v21
	v_cndmask_b32_e64 v21, -v21, v21, s36
	s_waitcnt lgkmcnt(0)
	v_add_f32_e32 v21, v21, v22
	v_add_f32_e32 v22, v126, v24
	ds_bpermute_b32 v23, v134, v22
	v_cndmask_b32_e64 v22, -v22, v22, s36
	s_waitcnt lgkmcnt(0)
	v_add_f32_e32 v22, v22, v23
	ds_bpermute_b32 v23, v130, v21
	v_cndmask_b32_e64 v21, -v21, v21, s35
	s_waitcnt lgkmcnt(0)
	;; [unrolled: 4-line block ×7, first 2 shown]
	v_add_f32_e32 v22, v22, v23
	ds_bpermute_b32 v23, v142, v21
	v_cndmask_b32_e64 v21, -v21, v21, s39
	ds_bpermute_b32 v127, v142, v22
	v_cndmask_b32_e64 v22, -v22, v22, s39
	s_waitcnt lgkmcnt(1)
	v_add_f32_e32 v21, v21, v23
	ds_bpermute_b32 v23, v134, v0
	v_cndmask_b32_e64 v0, -v0, v0, s36
	s_waitcnt lgkmcnt(1)
	v_add_f32_e32 v22, v22, v127
	s_waitcnt lgkmcnt(0)
	v_add_f32_e32 v0, v0, v23
	ds_bpermute_b32 v23, v130, v0
	v_cndmask_b32_e64 v0, -v0, v0, s35
	s_waitcnt lgkmcnt(0)
	v_add_f32_e32 v0, v0, v23
	ds_bpermute_b32 v23, v132, v0
	v_cndmask_b32_e64 v0, -v0, v0, s37
	;; [unrolled: 4-line block ×4, first 2 shown]
	s_waitcnt lgkmcnt(0)
	v_add_f32_e32 v23, v0, v23
	v_sub_f32_e32 v0, v126, v24
	ds_bpermute_b32 v24, v134, v0
	v_cndmask_b32_e64 v0, -v0, v0, s36
	s_waitcnt lgkmcnt(0)
	v_add_f32_e32 v0, v0, v24
	ds_bpermute_b32 v24, v130, v0
	v_cndmask_b32_e64 v0, -v0, v0, s35
	s_waitcnt lgkmcnt(0)
	v_add_f32_e32 v0, v0, v24
	;; [unrolled: 4-line block ×5, first 2 shown]
	v_add_f32_e32 v0, v25, v26
	ds_write_b128 v136, v[21:24] offset:4096
	v_add_f32_e32 v23, v27, v28
	v_sub_f32_e32 v24, v25, v26
	v_sub_f32_e32 v25, v27, v28
	ds_bpermute_b32 v28, v134, v117
	v_cndmask_b32_e64 v117, -v117, v117, s36
	v_add_f32_e32 v21, v23, v0
	v_sub_f32_e32 v0, v0, v23
	ds_bpermute_b32 v22, v134, v21
	ds_bpermute_b32 v23, v134, v0
	v_cndmask_b32_e64 v0, -v0, v0, s36
	v_cndmask_b32_e64 v21, -v21, v21, s36
	s_waitcnt lgkmcnt(2)
	v_add_f32_e32 v28, v117, v28
	s_waitcnt lgkmcnt(1)
	v_add_f32_e32 v21, v21, v22
	s_waitcnt lgkmcnt(0)
	v_add_f32_e32 v0, v0, v23
	v_add_f32_e32 v22, v24, v25
	ds_bpermute_b32 v23, v130, v0
	v_cndmask_b32_e64 v0, -v0, v0, s35
	ds_bpermute_b32 v26, v134, v22
	v_cndmask_b32_e64 v22, -v22, v22, s36
	s_waitcnt lgkmcnt(1)
	v_add_f32_e32 v0, v0, v23
	s_waitcnt lgkmcnt(0)
	v_add_f32_e32 v22, v22, v26
	ds_bpermute_b32 v26, v130, v21
	v_cndmask_b32_e64 v21, -v21, v21, s35
	ds_bpermute_b32 v23, v132, v0
	v_cndmask_b32_e64 v0, -v0, v0, s37
	s_waitcnt lgkmcnt(1)
	v_add_f32_e32 v21, v21, v26
	ds_bpermute_b32 v26, v130, v22
	s_waitcnt lgkmcnt(1)
	v_add_f32_e32 v0, v0, v23
	v_cndmask_b32_e64 v22, -v22, v22, s35
	ds_bpermute_b32 v23, v140, v0
	v_cndmask_b32_e64 v0, -v0, v0, s38
	s_waitcnt lgkmcnt(1)
	v_add_f32_e32 v22, v22, v26
	ds_bpermute_b32 v26, v132, v21
	v_cndmask_b32_e64 v21, -v21, v21, s37
	s_waitcnt lgkmcnt(1)
	v_add_f32_e32 v0, v0, v23
	;; [unrolled: 4-line block ×4, first 2 shown]
	v_sub_f32_e32 v0, v24, v25
	ds_bpermute_b32 v24, v134, v0
	v_cndmask_b32_e64 v0, -v0, v0, s36
	s_waitcnt lgkmcnt(1)
	v_add_f32_e32 v22, v22, v26
	ds_bpermute_b32 v26, v140, v21
	v_cndmask_b32_e64 v21, -v21, v21, s38
	s_waitcnt lgkmcnt(1)
	v_add_f32_e32 v0, v0, v24
	;; [unrolled: 4-line block ×4, first 2 shown]
	s_waitcnt lgkmcnt(0)
	v_add_f32_e32 v22, v22, v26
	ds_bpermute_b32 v26, v142, v21
	ds_bpermute_b32 v24, v132, v0
	v_cndmask_b32_e64 v0, -v0, v0, s37
	v_cndmask_b32_e64 v21, -v21, v21, s39
	ds_bpermute_b32 v27, v142, v22
	v_cndmask_b32_e64 v22, -v22, v22, s39
	s_waitcnt lgkmcnt(2)
	v_add_f32_e32 v21, v21, v26
	s_waitcnt lgkmcnt(1)
	v_add_f32_e32 v0, v0, v24
	;; [unrolled: 2-line block ×3, first 2 shown]
	ds_bpermute_b32 v24, v140, v0
	v_cndmask_b32_e64 v0, -v0, v0, s38
	s_waitcnt lgkmcnt(0)
	v_add_f32_e32 v0, v0, v24
	ds_bpermute_b32 v24, v142, v0
	v_cndmask_b32_e64 v0, -v0, v0, s39
	s_waitcnt lgkmcnt(0)
	v_add_f32_e32 v24, v0, v24
	v_add_f32_e32 v0, v13, v14
	ds_write_b128 v136, v[21:24] offset:8192
	v_add_f32_e32 v21, v15, v16
	v_sub_f32_e32 v22, v13, v14
	v_sub_f32_e32 v16, v15, v16
	v_add_f32_e32 v13, v21, v0
	v_sub_f32_e32 v0, v0, v21
	ds_bpermute_b32 v14, v134, v13
	v_cndmask_b32_e64 v13, -v13, v13, s36
	s_waitcnt lgkmcnt(0)
	v_add_f32_e32 v13, v13, v14
	v_add_f32_e32 v14, v22, v16
	ds_bpermute_b32 v15, v134, v14
	v_cndmask_b32_e64 v14, -v14, v14, s36
	s_waitcnt lgkmcnt(0)
	v_add_f32_e32 v14, v14, v15
	ds_bpermute_b32 v15, v130, v13
	v_cndmask_b32_e64 v13, -v13, v13, s35
	s_waitcnt lgkmcnt(0)
	v_add_f32_e32 v13, v13, v15
	ds_bpermute_b32 v15, v130, v14
	v_cndmask_b32_e64 v14, -v14, v14, s35
	s_waitcnt lgkmcnt(0)
	v_add_f32_e32 v14, v14, v15
	ds_bpermute_b32 v15, v132, v13
	v_cndmask_b32_e64 v13, -v13, v13, s37
	s_waitcnt lgkmcnt(0)
	v_add_f32_e32 v13, v13, v15
	ds_bpermute_b32 v15, v132, v14
	v_cndmask_b32_e64 v14, -v14, v14, s37
	s_waitcnt lgkmcnt(0)
	v_add_f32_e32 v14, v14, v15
	ds_bpermute_b32 v15, v140, v13
	v_cndmask_b32_e64 v13, -v13, v13, s38
	s_waitcnt lgkmcnt(0)
	v_add_f32_e32 v13, v13, v15
	ds_bpermute_b32 v15, v140, v14
	v_cndmask_b32_e64 v14, -v14, v14, s38
	s_waitcnt lgkmcnt(0)
	v_add_f32_e32 v14, v14, v15
	ds_bpermute_b32 v15, v142, v13
	v_cndmask_b32_e64 v13, -v13, v13, s39
	ds_bpermute_b32 v23, v142, v14
	v_cndmask_b32_e64 v14, -v14, v14, s39
	s_waitcnt lgkmcnt(1)
	v_add_f32_e32 v13, v13, v15
	ds_bpermute_b32 v15, v134, v0
	v_cndmask_b32_e64 v0, -v0, v0, s36
	s_waitcnt lgkmcnt(1)
	v_add_f32_e32 v14, v14, v23
	s_waitcnt lgkmcnt(0)
	v_add_f32_e32 v0, v0, v15
	ds_bpermute_b32 v15, v130, v0
	v_cndmask_b32_e64 v0, -v0, v0, s35
	s_waitcnt lgkmcnt(0)
	v_add_f32_e32 v0, v0, v15
	ds_bpermute_b32 v15, v132, v0
	v_cndmask_b32_e64 v0, -v0, v0, s37
	;; [unrolled: 4-line block ×4, first 2 shown]
	s_waitcnt lgkmcnt(0)
	v_add_f32_e32 v15, v0, v15
	v_sub_f32_e32 v0, v22, v16
	ds_bpermute_b32 v16, v134, v0
	v_cndmask_b32_e64 v0, -v0, v0, s36
	s_waitcnt lgkmcnt(0)
	v_add_f32_e32 v0, v0, v16
	ds_bpermute_b32 v16, v130, v0
	v_cndmask_b32_e64 v0, -v0, v0, s35
	s_waitcnt lgkmcnt(0)
	v_add_f32_e32 v0, v0, v16
	;; [unrolled: 4-line block ×5, first 2 shown]
	v_add_f32_e32 v0, v17, v18
	ds_write_b128 v136, v[13:16] offset:12288
	v_add_f32_e32 v15, v19, v20
	v_sub_f32_e32 v16, v17, v18
	v_sub_f32_e32 v17, v19, v20
	v_add_f32_e32 v13, v15, v0
	v_sub_f32_e32 v0, v0, v15
	ds_bpermute_b32 v14, v134, v13
	ds_bpermute_b32 v15, v134, v0
	v_cndmask_b32_e64 v0, -v0, v0, s36
	v_cndmask_b32_e64 v13, -v13, v13, s36
	s_waitcnt lgkmcnt(1)
	v_add_f32_e32 v13, v13, v14
	s_waitcnt lgkmcnt(0)
	v_add_f32_e32 v0, v0, v15
	v_add_f32_e32 v14, v16, v17
	ds_bpermute_b32 v15, v130, v0
	v_cndmask_b32_e64 v0, -v0, v0, s35
	ds_bpermute_b32 v18, v134, v14
	v_cndmask_b32_e64 v14, -v14, v14, s36
	s_waitcnt lgkmcnt(1)
	v_add_f32_e32 v0, v0, v15
	s_waitcnt lgkmcnt(0)
	v_add_f32_e32 v14, v14, v18
	ds_bpermute_b32 v18, v130, v13
	v_cndmask_b32_e64 v13, -v13, v13, s35
	ds_bpermute_b32 v15, v132, v0
	v_cndmask_b32_e64 v0, -v0, v0, s37
	s_waitcnt lgkmcnt(1)
	v_add_f32_e32 v13, v13, v18
	ds_bpermute_b32 v18, v130, v14
	s_waitcnt lgkmcnt(1)
	v_add_f32_e32 v0, v0, v15
	v_cndmask_b32_e64 v14, -v14, v14, s35
	ds_bpermute_b32 v15, v140, v0
	v_cndmask_b32_e64 v0, -v0, v0, s38
	s_waitcnt lgkmcnt(1)
	v_add_f32_e32 v14, v14, v18
	ds_bpermute_b32 v18, v132, v13
	v_cndmask_b32_e64 v13, -v13, v13, s37
	s_waitcnt lgkmcnt(1)
	v_add_f32_e32 v0, v0, v15
	;; [unrolled: 4-line block ×4, first 2 shown]
	v_sub_f32_e32 v0, v16, v17
	ds_bpermute_b32 v16, v134, v0
	v_cndmask_b32_e64 v0, -v0, v0, s36
	s_waitcnt lgkmcnt(1)
	v_add_f32_e32 v14, v14, v18
	ds_bpermute_b32 v18, v140, v13
	v_cndmask_b32_e64 v13, -v13, v13, s38
	s_waitcnt lgkmcnt(1)
	v_add_f32_e32 v0, v0, v16
	;; [unrolled: 4-line block ×4, first 2 shown]
	s_waitcnt lgkmcnt(0)
	v_add_f32_e32 v14, v14, v18
	ds_bpermute_b32 v18, v142, v13
	ds_bpermute_b32 v16, v132, v0
	v_cndmask_b32_e64 v0, -v0, v0, s37
	v_cndmask_b32_e64 v13, -v13, v13, s39
	ds_bpermute_b32 v19, v142, v14
	v_cndmask_b32_e64 v14, -v14, v14, s39
	s_waitcnt lgkmcnt(2)
	v_add_f32_e32 v13, v13, v18
	s_waitcnt lgkmcnt(1)
	v_add_f32_e32 v0, v0, v16
	;; [unrolled: 2-line block ×3, first 2 shown]
	ds_bpermute_b32 v16, v140, v0
	v_cndmask_b32_e64 v0, -v0, v0, s38
	s_waitcnt lgkmcnt(0)
	v_add_f32_e32 v0, v0, v16
	ds_bpermute_b32 v16, v142, v0
	v_cndmask_b32_e64 v0, -v0, v0, s39
	s_waitcnt lgkmcnt(0)
	v_add_f32_e32 v16, v0, v16
	v_add_f32_e32 v0, v5, v6
	ds_write_b128 v136, v[13:16] offset:16384
	v_add_f32_e32 v13, v7, v8
	v_sub_f32_e32 v14, v5, v6
	v_sub_f32_e32 v8, v7, v8
	v_add_f32_e32 v5, v13, v0
	v_sub_f32_e32 v0, v0, v13
	ds_bpermute_b32 v6, v134, v5
	v_cndmask_b32_e64 v5, -v5, v5, s36
	s_waitcnt lgkmcnt(0)
	v_add_f32_e32 v5, v5, v6
	v_add_f32_e32 v6, v14, v8
	ds_bpermute_b32 v7, v134, v6
	v_cndmask_b32_e64 v6, -v6, v6, s36
	s_waitcnt lgkmcnt(0)
	v_add_f32_e32 v6, v6, v7
	ds_bpermute_b32 v7, v130, v5
	v_cndmask_b32_e64 v5, -v5, v5, s35
	s_waitcnt lgkmcnt(0)
	;; [unrolled: 4-line block ×7, first 2 shown]
	v_add_f32_e32 v6, v6, v7
	ds_bpermute_b32 v7, v142, v5
	v_cndmask_b32_e64 v5, -v5, v5, s39
	ds_bpermute_b32 v15, v142, v6
	v_cndmask_b32_e64 v6, -v6, v6, s39
	s_waitcnt lgkmcnt(1)
	v_add_f32_e32 v5, v5, v7
	ds_bpermute_b32 v7, v134, v0
	v_cndmask_b32_e64 v0, -v0, v0, s36
	s_waitcnt lgkmcnt(1)
	v_add_f32_e32 v6, v6, v15
	s_waitcnt lgkmcnt(0)
	v_add_f32_e32 v0, v0, v7
	ds_bpermute_b32 v7, v130, v0
	v_cndmask_b32_e64 v0, -v0, v0, s35
	s_waitcnt lgkmcnt(0)
	v_add_f32_e32 v0, v0, v7
	ds_bpermute_b32 v7, v132, v0
	v_cndmask_b32_e64 v0, -v0, v0, s37
	;; [unrolled: 4-line block ×4, first 2 shown]
	s_waitcnt lgkmcnt(0)
	v_add_f32_e32 v7, v0, v7
	v_sub_f32_e32 v0, v14, v8
	ds_bpermute_b32 v8, v134, v0
	v_cndmask_b32_e64 v0, -v0, v0, s36
	s_waitcnt lgkmcnt(0)
	v_add_f32_e32 v0, v0, v8
	ds_bpermute_b32 v8, v130, v0
	v_cndmask_b32_e64 v0, -v0, v0, s35
	s_waitcnt lgkmcnt(0)
	v_add_f32_e32 v0, v0, v8
	;; [unrolled: 4-line block ×5, first 2 shown]
	v_add_f32_e32 v0, v9, v10
	ds_write_b128 v136, v[5:8] offset:20480
	v_add_f32_e32 v7, v11, v12
	v_sub_f32_e32 v8, v9, v10
	v_sub_f32_e32 v9, v11, v12
	v_add_f32_e32 v5, v7, v0
	v_sub_f32_e32 v0, v0, v7
	ds_bpermute_b32 v6, v134, v5
	ds_bpermute_b32 v7, v134, v0
	v_cndmask_b32_e64 v0, -v0, v0, s36
	v_cndmask_b32_e64 v5, -v5, v5, s36
	s_waitcnt lgkmcnt(1)
	v_add_f32_e32 v5, v5, v6
	s_waitcnt lgkmcnt(0)
	v_add_f32_e32 v0, v0, v7
	v_add_f32_e32 v6, v8, v9
	ds_bpermute_b32 v7, v130, v0
	v_cndmask_b32_e64 v0, -v0, v0, s35
	ds_bpermute_b32 v10, v134, v6
	v_cndmask_b32_e64 v6, -v6, v6, s36
	s_waitcnt lgkmcnt(1)
	v_add_f32_e32 v0, v0, v7
	s_waitcnt lgkmcnt(0)
	v_add_f32_e32 v6, v6, v10
	ds_bpermute_b32 v10, v130, v5
	v_cndmask_b32_e64 v5, -v5, v5, s35
	ds_bpermute_b32 v7, v132, v0
	v_cndmask_b32_e64 v0, -v0, v0, s37
	s_waitcnt lgkmcnt(1)
	v_add_f32_e32 v5, v5, v10
	ds_bpermute_b32 v10, v130, v6
	s_waitcnt lgkmcnt(1)
	v_add_f32_e32 v0, v0, v7
	v_cndmask_b32_e64 v6, -v6, v6, s35
	ds_bpermute_b32 v7, v140, v0
	v_cndmask_b32_e64 v0, -v0, v0, s38
	s_waitcnt lgkmcnt(1)
	v_add_f32_e32 v6, v6, v10
	ds_bpermute_b32 v10, v132, v5
	v_cndmask_b32_e64 v5, -v5, v5, s37
	s_waitcnt lgkmcnt(1)
	v_add_f32_e32 v0, v0, v7
	;; [unrolled: 4-line block ×4, first 2 shown]
	v_sub_f32_e32 v0, v8, v9
	ds_bpermute_b32 v8, v134, v0
	v_cndmask_b32_e64 v0, -v0, v0, s36
	s_waitcnt lgkmcnt(1)
	v_add_f32_e32 v6, v6, v10
	ds_bpermute_b32 v10, v140, v5
	v_cndmask_b32_e64 v5, -v5, v5, s38
	s_waitcnt lgkmcnt(1)
	v_add_f32_e32 v0, v0, v8
	;; [unrolled: 4-line block ×4, first 2 shown]
	s_waitcnt lgkmcnt(0)
	v_add_f32_e32 v6, v6, v10
	ds_bpermute_b32 v10, v142, v5
	ds_bpermute_b32 v8, v132, v0
	v_cndmask_b32_e64 v0, -v0, v0, s37
	v_cndmask_b32_e64 v5, -v5, v5, s39
	ds_bpermute_b32 v11, v142, v6
	v_cndmask_b32_e64 v6, -v6, v6, s39
	s_waitcnt lgkmcnt(2)
	v_add_f32_e32 v5, v5, v10
	s_waitcnt lgkmcnt(1)
	v_add_f32_e32 v0, v0, v8
	;; [unrolled: 2-line block ×3, first 2 shown]
	ds_bpermute_b32 v8, v140, v0
	v_cndmask_b32_e64 v0, -v0, v0, s38
	s_waitcnt lgkmcnt(0)
	v_add_f32_e32 v0, v0, v8
	ds_bpermute_b32 v8, v142, v0
	v_cndmask_b32_e64 v0, -v0, v0, s39
	s_waitcnt lgkmcnt(0)
	v_add_f32_e32 v8, v0, v8
	ds_write_b128 v136, v[5:8] offset:24576
	v_add_f32_e32 v5, v1, v2
	v_add_f32_e32 v6, v3, v4
	v_sub_f32_e32 v7, v1, v2
	v_sub_f32_e32 v3, v3, v4
	v_add_f32_e32 v0, v6, v5
	ds_bpermute_b32 v1, v134, v0
	v_cndmask_b32_e64 v0, -v0, v0, s36
	s_waitcnt lgkmcnt(0)
	v_add_f32_e32 v0, v0, v1
	v_add_f32_e32 v1, v7, v3
	v_sub_f32_e32 v3, v7, v3
	v_cndmask_b32_e64 v7, -v122, v122, s36
	ds_bpermute_b32 v2, v134, v1
	v_cndmask_b32_e64 v1, -v1, v1, s36
	s_waitcnt lgkmcnt(0)
	v_add_f32_e32 v1, v1, v2
	ds_bpermute_b32 v2, v130, v0
	v_cndmask_b32_e64 v0, -v0, v0, s35
	s_waitcnt lgkmcnt(0)
	v_add_f32_e32 v0, v0, v2
	;; [unrolled: 4-line block ×7, first 2 shown]
	ds_bpermute_b32 v2, v142, v0
	v_cndmask_b32_e64 v0, -v0, v0, s39
	ds_bpermute_b32 v4, v142, v1
	v_cndmask_b32_e64 v1, -v1, v1, s39
	s_waitcnt lgkmcnt(1)
	v_add_f32_e32 v0, v0, v2
	v_sub_f32_e32 v2, v5, v6
	ds_bpermute_b32 v6, v134, v122
	v_cndmask_b32_e64 v5, -v121, v121, s36
	s_waitcnt lgkmcnt(1)
	v_add_f32_e32 v1, v1, v4
	ds_bpermute_b32 v4, v134, v2
	v_cndmask_b32_e64 v2, -v2, v2, s36
	s_waitcnt lgkmcnt(0)
	v_add_f32_e32 v2, v2, v4
	;; [unrolled: 4-line block ×11, first 2 shown]
	ds_bpermute_b32 v4, v134, v121
	ds_write_b128 v136, v[0:3] offset:28672
	ds_bpermute_b32 v0, v134, v123
	v_cndmask_b32_e64 v3, -v123, v123, s36
	ds_bpermute_b32 v1, v134, v124
	v_cndmask_b32_e64 v2, -v124, v124, s36
	s_waitcnt lgkmcnt(0)
	s_barrier
	buffer_gl0_inv
	v_add_f32_e32 v5, v5, v4
	v_add_f32_e32 v4, v7, v6
	;; [unrolled: 1-line block ×3, first 2 shown]
	ds_bpermute_b32 v6, v130, v5
	v_cndmask_b32_e64 v5, -v5, v5, s35
	ds_bpermute_b32 v3, v130, v0
	v_cndmask_b32_e64 v0, -v0, v0, s35
	s_waitcnt lgkmcnt(1)
	v_add_f32_e32 v5, v5, v6
	ds_bpermute_b32 v6, v130, v4
	v_cndmask_b32_e64 v4, -v4, v4, s35
	s_waitcnt lgkmcnt(1)
	v_add_f32_e32 v0, v0, v3
	;; [unrolled: 4-line block ×3, first 2 shown]
	ds_bpermute_b32 v6, v132, v5
	v_cndmask_b32_e64 v5, -v5, v5, s37
	ds_bpermute_b32 v7, v132, v4
	v_cndmask_b32_e64 v4, -v4, v4, s37
	s_waitcnt lgkmcnt(2)
	v_add_f32_e32 v127, v0, v3
	v_add_f32_e32 v0, v2, v1
	ds_bpermute_b32 v1, v130, v0
	v_cndmask_b32_e64 v0, -v0, v0, s35
	s_waitcnt lgkmcnt(2)
	v_add_f32_e32 v125, v5, v6
	s_waitcnt lgkmcnt(1)
	v_add_f32_e32 v126, v4, v7
	s_waitcnt lgkmcnt(0)
	v_add_f32_e32 v0, v0, v1
	ds_bpermute_b32 v1, v132, v0
	v_cndmask_b32_e64 v0, -v0, v0, s37
	s_waitcnt lgkmcnt(0)
	v_add_f32_e32 v128, v0, v1
	ds_read_b128 v[121:124], v138
	ds_read_b128 v[24:27], v138 offset:4096
	ds_read_b128 v[20:23], v138 offset:8192
	;; [unrolled: 1-line block ×7, first 2 shown]
	s_waitcnt lgkmcnt(0)
	s_barrier
	buffer_gl0_inv
	ds_write_b128 v138, v[125:128]
	ds_bpermute_b32 v125, v134, v118
	v_cndmask_b32_e64 v118, -v118, v118, s36
	ds_bpermute_b32 v126, v134, v119
	v_cndmask_b32_e64 v119, -v119, v119, s36
	;; [unrolled: 2-line block ×3, first 2 shown]
	s_waitcnt lgkmcnt(2)
	v_add_f32_e32 v117, v118, v125
	ds_bpermute_b32 v118, v130, v28
	v_cndmask_b32_e64 v28, -v28, v28, s35
	s_waitcnt lgkmcnt(0)
	v_add_f32_e32 v28, v28, v118
	ds_bpermute_b32 v118, v130, v117
	v_cndmask_b32_e64 v117, -v117, v117, s35
	s_waitcnt lgkmcnt(0)
	v_add_f32_e32 v117, v117, v118
	ds_bpermute_b32 v118, v132, v28
	v_cndmask_b32_e64 v28, -v28, v28, s37
	ds_bpermute_b32 v125, v132, v117
	v_cndmask_b32_e64 v128, -v117, v117, s37
	s_waitcnt lgkmcnt(1)
	v_add_f32_e32 v117, v28, v118
	v_add_f32_e32 v28, v119, v126
	s_waitcnt lgkmcnt(0)
	v_add_f32_e32 v118, v128, v125
	ds_bpermute_b32 v119, v130, v28
	v_cndmask_b32_e64 v28, -v28, v28, s35
	s_waitcnt lgkmcnt(0)
	v_add_f32_e32 v28, v28, v119
	ds_bpermute_b32 v119, v132, v28
	v_cndmask_b32_e64 v28, -v28, v28, s37
	s_waitcnt lgkmcnt(0)
	v_add_f32_e32 v119, v28, v119
	v_add_f32_e32 v28, v120, v127
	ds_bpermute_b32 v120, v130, v28
	v_cndmask_b32_e64 v28, -v28, v28, s35
	s_waitcnt lgkmcnt(0)
	v_add_f32_e32 v28, v28, v120
	ds_bpermute_b32 v120, v132, v28
	v_cndmask_b32_e64 v28, -v28, v28, s37
	s_waitcnt lgkmcnt(0)
	v_add_f32_e32 v120, v28, v120
	ds_bpermute_b32 v28, v134, v113
	v_cndmask_b32_e64 v113, -v113, v113, s36
	ds_write_b128 v138, v[117:120] offset:4096
	ds_bpermute_b32 v117, v134, v114
	v_cndmask_b32_e64 v114, -v114, v114, s36
	ds_bpermute_b32 v118, v134, v115
	v_cndmask_b32_e64 v115, -v115, v115, s36
	ds_bpermute_b32 v119, v134, v116
	v_cndmask_b32_e64 v116, -v116, v116, s36
	s_waitcnt lgkmcnt(4)
	v_add_f32_e32 v28, v113, v28
	s_waitcnt lgkmcnt(2)
	v_add_f32_e32 v113, v114, v117
	ds_bpermute_b32 v114, v130, v28
	v_cndmask_b32_e64 v28, -v28, v28, s35
	s_waitcnt lgkmcnt(0)
	v_add_f32_e32 v28, v28, v114
	ds_bpermute_b32 v114, v130, v113
	v_cndmask_b32_e64 v113, -v113, v113, s35
	s_waitcnt lgkmcnt(0)
	v_add_f32_e32 v113, v113, v114
	ds_bpermute_b32 v114, v132, v28
	v_cndmask_b32_e64 v28, -v28, v28, s37
	ds_bpermute_b32 v117, v132, v113
	v_cndmask_b32_e64 v120, -v113, v113, s37
	s_waitcnt lgkmcnt(1)
	v_add_f32_e32 v113, v28, v114
	v_add_f32_e32 v28, v115, v118
	s_waitcnt lgkmcnt(0)
	v_add_f32_e32 v114, v120, v117
	ds_bpermute_b32 v115, v130, v28
	v_cndmask_b32_e64 v28, -v28, v28, s35
	s_waitcnt lgkmcnt(0)
	v_add_f32_e32 v28, v28, v115
	ds_bpermute_b32 v115, v132, v28
	v_cndmask_b32_e64 v28, -v28, v28, s37
	s_waitcnt lgkmcnt(0)
	v_add_f32_e32 v115, v28, v115
	v_add_f32_e32 v28, v116, v119
	ds_bpermute_b32 v116, v130, v28
	v_cndmask_b32_e64 v28, -v28, v28, s35
	s_waitcnt lgkmcnt(0)
	v_add_f32_e32 v28, v28, v116
	ds_bpermute_b32 v116, v132, v28
	v_cndmask_b32_e64 v28, -v28, v28, s37
	s_waitcnt lgkmcnt(0)
	v_add_f32_e32 v116, v28, v116
	ds_bpermute_b32 v28, v134, v109
	v_cndmask_b32_e64 v109, -v109, v109, s36
	ds_write_b128 v138, v[113:116] offset:8192
	ds_bpermute_b32 v113, v134, v110
	v_cndmask_b32_e64 v110, -v110, v110, s36
	ds_bpermute_b32 v114, v134, v111
	v_cndmask_b32_e64 v111, -v111, v111, s36
	ds_bpermute_b32 v115, v134, v112
	v_cndmask_b32_e64 v112, -v112, v112, s36
	s_waitcnt lgkmcnt(4)
	v_add_f32_e32 v28, v109, v28
	;; [unrolled: 47-line block ×6, first 2 shown]
	s_waitcnt lgkmcnt(2)
	v_add_f32_e32 v93, v94, v97
	ds_bpermute_b32 v94, v130, v28
	v_cndmask_b32_e64 v28, -v28, v28, s35
	s_waitcnt lgkmcnt(0)
	v_add_f32_e32 v28, v28, v94
	ds_bpermute_b32 v94, v130, v93
	v_cndmask_b32_e64 v93, -v93, v93, s35
	;; [unrolled: 4-line block ×3, first 2 shown]
	ds_bpermute_b32 v97, v132, v93
	v_cndmask_b32_e64 v100, -v93, v93, s37
	s_waitcnt lgkmcnt(1)
	v_add_f32_e32 v93, v28, v94
	v_add_f32_e32 v28, v95, v98
	s_waitcnt lgkmcnt(0)
	v_add_f32_e32 v94, v100, v97
	ds_bpermute_b32 v95, v130, v28
	v_cndmask_b32_e64 v28, -v28, v28, s35
	s_waitcnt lgkmcnt(0)
	v_add_f32_e32 v28, v28, v95
	ds_bpermute_b32 v95, v132, v28
	v_cndmask_b32_e64 v28, -v28, v28, s37
	s_waitcnt lgkmcnt(0)
	v_add_f32_e32 v95, v28, v95
	v_add_f32_e32 v28, v96, v99
	ds_bpermute_b32 v96, v130, v28
	v_cndmask_b32_e64 v28, -v28, v28, s35
	s_waitcnt lgkmcnt(0)
	v_add_f32_e32 v28, v28, v96
	ds_bpermute_b32 v96, v132, v28
	v_cndmask_b32_e64 v28, -v28, v28, s37
	s_waitcnt lgkmcnt(0)
	v_add_f32_e32 v96, v28, v96
	ds_bpermute_b32 v28, v134, v89
	v_cndmask_b32_e64 v89, -v89, v89, s36
	ds_write_b128 v138, v[93:96] offset:28672
	ds_bpermute_b32 v93, v134, v90
	v_cndmask_b32_e64 v90, -v90, v90, s36
	ds_bpermute_b32 v94, v134, v91
	v_cndmask_b32_e64 v91, -v91, v91, s36
	;; [unrolled: 2-line block ×3, first 2 shown]
	s_waitcnt lgkmcnt(0)
	s_barrier
	buffer_gl0_inv
	v_add_f32_e32 v28, v89, v28
	v_add_f32_e32 v89, v90, v93
	ds_bpermute_b32 v90, v130, v28
	v_cndmask_b32_e64 v28, -v28, v28, s35
	s_waitcnt lgkmcnt(0)
	v_add_f32_e32 v28, v28, v90
	ds_bpermute_b32 v90, v130, v89
	v_cndmask_b32_e64 v89, -v89, v89, s35
	s_waitcnt lgkmcnt(0)
	v_add_f32_e32 v89, v89, v90
	ds_bpermute_b32 v90, v132, v28
	v_cndmask_b32_e64 v28, -v28, v28, s37
	ds_bpermute_b32 v93, v132, v89
	v_cndmask_b32_e64 v89, -v89, v89, s37
	s_waitcnt lgkmcnt(1)
	v_add_f32_e32 v125, v28, v90
	v_add_f32_e32 v28, v91, v94
	s_waitcnt lgkmcnt(0)
	v_add_f32_e32 v126, v89, v93
	ds_bpermute_b32 v89, v130, v28
	v_cndmask_b32_e64 v28, -v28, v28, s35
	s_waitcnt lgkmcnt(0)
	v_add_f32_e32 v28, v28, v89
	ds_bpermute_b32 v89, v132, v28
	v_cndmask_b32_e64 v28, -v28, v28, s37
	s_waitcnt lgkmcnt(0)
	v_add_f32_e32 v127, v28, v89
	v_add_f32_e32 v28, v92, v95
	ds_bpermute_b32 v89, v130, v28
	v_cndmask_b32_e64 v28, -v28, v28, s35
	s_waitcnt lgkmcnt(0)
	v_add_f32_e32 v28, v28, v89
	ds_bpermute_b32 v89, v132, v28
	v_cndmask_b32_e64 v28, -v28, v28, s37
	s_waitcnt lgkmcnt(0)
	v_add_f32_e32 v128, v28, v89
	ds_bpermute_b32 v28, v134, v85
	ds_read_b128 v[113:116], v136
	ds_read_b128 v[117:120], v136 offset:4096
	ds_read_b128 v[105:108], v136 offset:8192
	;; [unrolled: 1-line block ×7, first 2 shown]
	s_waitcnt lgkmcnt(0)
	s_barrier
	buffer_gl0_inv
	ds_write_b128 v138, v[125:128]
	ds_bpermute_b32 v125, v134, v86
	v_cndmask_b32_e64 v85, -v85, v85, s36
	v_cndmask_b32_e64 v86, -v86, v86, s36
	ds_bpermute_b32 v126, v134, v87
	v_cndmask_b32_e64 v87, -v87, v87, s36
	ds_bpermute_b32 v127, v134, v88
	v_cndmask_b32_e64 v88, -v88, v88, s36
	v_add_f32_e32 v216, v113, v117
	v_add_f32_e32 v217, v114, v118
	v_add_f32_e32 v220, v105, v109
	v_add_f32_e32 v221, v106, v110
	v_add_f32_e32 v224, v97, v101
	v_add_f32_e32 v28, v85, v28
	v_add_f32_e32 v228, v89, v93
	v_add_f32_e32 v225, v98, v102
	v_add_f32_e32 v229, v90, v94
	v_add_f32_e32 v184, v216, v220
	v_add_f32_e32 v218, v115, v119
	s_waitcnt lgkmcnt(2)
	v_add_f32_e32 v85, v86, v125
	ds_bpermute_b32 v86, v130, v28
	v_cndmask_b32_e64 v28, -v28, v28, s35
	v_add_f32_e32 v188, v224, v228
	v_add_f32_e32 v222, v107, v111
	;; [unrolled: 1-line block ×14, first 2 shown]
	s_waitcnt lgkmcnt(0)
	v_add_f32_e32 v28, v28, v86
	ds_bpermute_b32 v86, v130, v85
	v_cndmask_b32_e64 v85, -v85, v85, s35
	s_waitcnt lgkmcnt(0)
	v_add_f32_e32 v85, v85, v86
	ds_bpermute_b32 v86, v132, v28
	v_cndmask_b32_e64 v28, -v28, v28, s37
	ds_bpermute_b32 v125, v132, v85
	v_cndmask_b32_e64 v128, -v85, v85, s37
	s_waitcnt lgkmcnt(1)
	v_add_f32_e32 v85, v28, v86
	v_add_f32_e32 v28, v87, v126
	s_waitcnt lgkmcnt(0)
	v_add_f32_e32 v86, v128, v125
	ds_bpermute_b32 v87, v130, v28
	v_cndmask_b32_e64 v28, -v28, v28, s35
	s_waitcnt lgkmcnt(0)
	v_add_f32_e32 v28, v28, v87
	ds_bpermute_b32 v87, v132, v28
	v_cndmask_b32_e64 v28, -v28, v28, s37
	s_waitcnt lgkmcnt(0)
	v_add_f32_e32 v87, v28, v87
	v_add_f32_e32 v28, v88, v127
	ds_bpermute_b32 v88, v130, v28
	v_cndmask_b32_e64 v28, -v28, v28, s35
	s_waitcnt lgkmcnt(0)
	v_add_f32_e32 v28, v28, v88
	ds_bpermute_b32 v88, v132, v28
	v_cndmask_b32_e64 v28, -v28, v28, s37
	s_waitcnt lgkmcnt(0)
	v_add_f32_e32 v88, v28, v88
	ds_bpermute_b32 v28, v134, v81
	v_cndmask_b32_e64 v81, -v81, v81, s36
	ds_write_b128 v138, v[85:88] offset:4096
	ds_bpermute_b32 v85, v134, v82
	v_cndmask_b32_e64 v82, -v82, v82, s36
	ds_bpermute_b32 v86, v134, v83
	v_cndmask_b32_e64 v83, -v83, v83, s36
	ds_bpermute_b32 v87, v134, v84
	v_cndmask_b32_e64 v84, -v84, v84, s36
	s_waitcnt lgkmcnt(4)
	v_add_f32_e32 v28, v81, v28
	s_waitcnt lgkmcnt(2)
	v_add_f32_e32 v81, v82, v85
	ds_bpermute_b32 v82, v130, v28
	v_cndmask_b32_e64 v28, -v28, v28, s35
	s_waitcnt lgkmcnt(0)
	v_add_f32_e32 v28, v28, v82
	ds_bpermute_b32 v82, v130, v81
	v_cndmask_b32_e64 v81, -v81, v81, s35
	s_waitcnt lgkmcnt(0)
	v_add_f32_e32 v81, v81, v82
	ds_bpermute_b32 v82, v132, v28
	v_cndmask_b32_e64 v28, -v28, v28, s37
	ds_bpermute_b32 v85, v132, v81
	v_cndmask_b32_e64 v88, -v81, v81, s37
	s_waitcnt lgkmcnt(1)
	v_add_f32_e32 v81, v28, v82
	v_add_f32_e32 v28, v83, v86
	s_waitcnt lgkmcnt(0)
	v_add_f32_e32 v82, v88, v85
	ds_bpermute_b32 v83, v130, v28
	v_cndmask_b32_e64 v28, -v28, v28, s35
	s_waitcnt lgkmcnt(0)
	v_add_f32_e32 v28, v28, v83
	ds_bpermute_b32 v83, v132, v28
	v_cndmask_b32_e64 v28, -v28, v28, s37
	s_waitcnt lgkmcnt(0)
	v_add_f32_e32 v83, v28, v83
	v_add_f32_e32 v28, v84, v87
	ds_bpermute_b32 v84, v130, v28
	v_cndmask_b32_e64 v28, -v28, v28, s35
	s_waitcnt lgkmcnt(0)
	v_add_f32_e32 v28, v28, v84
	ds_bpermute_b32 v84, v132, v28
	v_cndmask_b32_e64 v28, -v28, v28, s37
	s_waitcnt lgkmcnt(0)
	v_add_f32_e32 v84, v28, v84
	ds_bpermute_b32 v28, v134, v77
	v_cndmask_b32_e64 v77, -v77, v77, s36
	ds_write_b128 v138, v[81:84] offset:8192
	ds_bpermute_b32 v81, v134, v78
	v_cndmask_b32_e64 v78, -v78, v78, s36
	ds_bpermute_b32 v82, v134, v79
	v_cndmask_b32_e64 v79, -v79, v79, s36
	ds_bpermute_b32 v83, v134, v80
	v_cndmask_b32_e64 v80, -v80, v80, s36
	s_waitcnt lgkmcnt(4)
	v_add_f32_e32 v28, v77, v28
	s_waitcnt lgkmcnt(2)
	v_add_f32_e32 v77, v78, v81
	ds_bpermute_b32 v78, v130, v28
	v_cndmask_b32_e64 v28, -v28, v28, s35
	s_waitcnt lgkmcnt(0)
	v_add_f32_e32 v28, v28, v78
	ds_bpermute_b32 v78, v130, v77
	v_cndmask_b32_e64 v77, -v77, v77, s35
	s_waitcnt lgkmcnt(0)
	v_add_f32_e32 v77, v77, v78
	ds_bpermute_b32 v78, v132, v28
	v_cndmask_b32_e64 v28, -v28, v28, s37
	ds_bpermute_b32 v81, v132, v77
	v_cndmask_b32_e64 v84, -v77, v77, s37
	s_waitcnt lgkmcnt(1)
	v_add_f32_e32 v77, v28, v78
	v_add_f32_e32 v28, v79, v82
	s_waitcnt lgkmcnt(0)
	v_add_f32_e32 v78, v84, v81
	ds_bpermute_b32 v79, v130, v28
	v_cndmask_b32_e64 v28, -v28, v28, s35
	s_waitcnt lgkmcnt(0)
	v_add_f32_e32 v28, v28, v79
	ds_bpermute_b32 v79, v132, v28
	v_cndmask_b32_e64 v28, -v28, v28, s37
	s_waitcnt lgkmcnt(0)
	v_add_f32_e32 v79, v28, v79
	v_add_f32_e32 v28, v80, v83
	ds_bpermute_b32 v80, v130, v28
	v_cndmask_b32_e64 v28, -v28, v28, s35
	s_waitcnt lgkmcnt(0)
	v_add_f32_e32 v28, v28, v80
	ds_bpermute_b32 v80, v132, v28
	v_cndmask_b32_e64 v28, -v28, v28, s37
	s_waitcnt lgkmcnt(0)
	v_add_f32_e32 v80, v28, v80
	ds_bpermute_b32 v28, v134, v73
	v_cndmask_b32_e64 v73, -v73, v73, s36
	ds_write_b128 v138, v[77:80] offset:12288
	ds_bpermute_b32 v77, v134, v74
	v_cndmask_b32_e64 v74, -v74, v74, s36
	ds_bpermute_b32 v78, v134, v75
	v_cndmask_b32_e64 v75, -v75, v75, s36
	ds_bpermute_b32 v79, v134, v76
	v_cndmask_b32_e64 v76, -v76, v76, s36
	s_waitcnt lgkmcnt(4)
	v_add_f32_e32 v28, v73, v28
	s_waitcnt lgkmcnt(2)
	v_add_f32_e32 v73, v74, v77
	ds_bpermute_b32 v74, v130, v28
	v_cndmask_b32_e64 v28, -v28, v28, s35
	s_waitcnt lgkmcnt(0)
	v_add_f32_e32 v28, v28, v74
	ds_bpermute_b32 v74, v130, v73
	v_cndmask_b32_e64 v73, -v73, v73, s35
	s_waitcnt lgkmcnt(0)
	v_add_f32_e32 v73, v73, v74
	ds_bpermute_b32 v74, v132, v28
	v_cndmask_b32_e64 v28, -v28, v28, s37
	ds_bpermute_b32 v77, v132, v73
	v_cndmask_b32_e64 v80, -v73, v73, s37
	s_waitcnt lgkmcnt(1)
	v_add_f32_e32 v73, v28, v74
	v_add_f32_e32 v28, v75, v78
	s_waitcnt lgkmcnt(0)
	v_add_f32_e32 v74, v80, v77
	ds_bpermute_b32 v75, v130, v28
	v_cndmask_b32_e64 v28, -v28, v28, s35
	s_waitcnt lgkmcnt(0)
	v_add_f32_e32 v28, v28, v75
	ds_bpermute_b32 v75, v132, v28
	v_cndmask_b32_e64 v28, -v28, v28, s37
	s_waitcnt lgkmcnt(0)
	v_add_f32_e32 v75, v28, v75
	v_add_f32_e32 v28, v76, v79
	ds_bpermute_b32 v76, v130, v28
	v_cndmask_b32_e64 v28, -v28, v28, s35
	s_waitcnt lgkmcnt(0)
	v_add_f32_e32 v28, v28, v76
	ds_bpermute_b32 v76, v132, v28
	v_cndmask_b32_e64 v28, -v28, v28, s37
	s_waitcnt lgkmcnt(0)
	v_add_f32_e32 v76, v28, v76
	ds_bpermute_b32 v28, v134, v69
	v_cndmask_b32_e64 v69, -v69, v69, s36
	ds_write_b128 v138, v[73:76] offset:16384
	ds_bpermute_b32 v73, v134, v70
	v_cndmask_b32_e64 v70, -v70, v70, s36
	ds_bpermute_b32 v74, v134, v71
	v_cndmask_b32_e64 v71, -v71, v71, s36
	ds_bpermute_b32 v75, v134, v72
	v_cndmask_b32_e64 v72, -v72, v72, s36
	s_waitcnt lgkmcnt(4)
	v_add_f32_e32 v28, v69, v28
	s_waitcnt lgkmcnt(2)
	v_add_f32_e32 v69, v70, v73
	ds_bpermute_b32 v70, v130, v28
	v_cndmask_b32_e64 v28, -v28, v28, s35
	s_waitcnt lgkmcnt(0)
	v_add_f32_e32 v28, v28, v70
	ds_bpermute_b32 v70, v130, v69
	v_cndmask_b32_e64 v69, -v69, v69, s35
	s_waitcnt lgkmcnt(0)
	v_add_f32_e32 v69, v69, v70
	ds_bpermute_b32 v70, v132, v28
	v_cndmask_b32_e64 v28, -v28, v28, s37
	ds_bpermute_b32 v73, v132, v69
	v_cndmask_b32_e64 v76, -v69, v69, s37
	s_waitcnt lgkmcnt(1)
	v_add_f32_e32 v69, v28, v70
	v_add_f32_e32 v28, v71, v74
	s_waitcnt lgkmcnt(0)
	v_add_f32_e32 v70, v76, v73
	ds_bpermute_b32 v71, v130, v28
	v_cndmask_b32_e64 v28, -v28, v28, s35
	s_waitcnt lgkmcnt(0)
	v_add_f32_e32 v28, v28, v71
	ds_bpermute_b32 v71, v132, v28
	v_cndmask_b32_e64 v28, -v28, v28, s37
	s_waitcnt lgkmcnt(0)
	v_add_f32_e32 v71, v28, v71
	v_add_f32_e32 v28, v72, v75
	ds_bpermute_b32 v72, v130, v28
	v_cndmask_b32_e64 v28, -v28, v28, s35
	s_waitcnt lgkmcnt(0)
	v_add_f32_e32 v28, v28, v72
	ds_bpermute_b32 v72, v132, v28
	v_cndmask_b32_e64 v28, -v28, v28, s37
	s_waitcnt lgkmcnt(0)
	v_add_f32_e32 v72, v28, v72
	ds_bpermute_b32 v28, v134, v65
	v_cndmask_b32_e64 v65, -v65, v65, s36
	ds_write_b128 v138, v[69:72] offset:20480
	ds_bpermute_b32 v69, v134, v66
	v_cndmask_b32_e64 v66, -v66, v66, s36
	ds_bpermute_b32 v70, v134, v67
	v_cndmask_b32_e64 v67, -v67, v67, s36
	ds_bpermute_b32 v71, v134, v68
	v_cndmask_b32_e64 v68, -v68, v68, s36
	s_waitcnt lgkmcnt(4)
	v_add_f32_e32 v28, v65, v28
	s_waitcnt lgkmcnt(2)
	v_add_f32_e32 v65, v66, v69
	ds_bpermute_b32 v66, v130, v28
	v_cndmask_b32_e64 v28, -v28, v28, s35
	s_waitcnt lgkmcnt(0)
	v_add_f32_e32 v28, v28, v66
	ds_bpermute_b32 v66, v130, v65
	v_cndmask_b32_e64 v65, -v65, v65, s35
	s_waitcnt lgkmcnt(0)
	v_add_f32_e32 v65, v65, v66
	ds_bpermute_b32 v66, v132, v28
	v_cndmask_b32_e64 v28, -v28, v28, s37
	ds_bpermute_b32 v69, v132, v65
	v_cndmask_b32_e64 v72, -v65, v65, s37
	s_waitcnt lgkmcnt(1)
	v_add_f32_e32 v65, v28, v66
	v_add_f32_e32 v28, v67, v70
	s_waitcnt lgkmcnt(0)
	v_add_f32_e32 v66, v72, v69
	ds_bpermute_b32 v67, v130, v28
	v_cndmask_b32_e64 v28, -v28, v28, s35
	s_waitcnt lgkmcnt(0)
	v_add_f32_e32 v28, v28, v67
	ds_bpermute_b32 v67, v132, v28
	v_cndmask_b32_e64 v28, -v28, v28, s37
	s_waitcnt lgkmcnt(0)
	v_add_f32_e32 v67, v28, v67
	v_add_f32_e32 v28, v68, v71
	ds_bpermute_b32 v68, v130, v28
	v_cndmask_b32_e64 v28, -v28, v28, s35
	s_waitcnt lgkmcnt(0)
	v_add_f32_e32 v28, v28, v68
	ds_bpermute_b32 v68, v132, v28
	v_cndmask_b32_e64 v28, -v28, v28, s37
	s_waitcnt lgkmcnt(0)
	v_add_f32_e32 v68, v28, v68
	ds_bpermute_b32 v28, v134, v61
	v_cndmask_b32_e64 v61, -v61, v61, s36
	ds_write_b128 v138, v[65:68] offset:24576
	ds_bpermute_b32 v65, v134, v62
	v_cndmask_b32_e64 v62, -v62, v62, s36
	ds_bpermute_b32 v66, v134, v63
	v_cndmask_b32_e64 v63, -v63, v63, s36
	ds_bpermute_b32 v67, v134, v64
	v_cndmask_b32_e64 v64, -v64, v64, s36
	s_waitcnt lgkmcnt(4)
	v_add_f32_e32 v28, v61, v28
	s_waitcnt lgkmcnt(2)
	v_add_f32_e32 v61, v62, v65
	ds_bpermute_b32 v62, v130, v28
	v_cndmask_b32_e64 v28, -v28, v28, s35
	s_waitcnt lgkmcnt(0)
	v_add_f32_e32 v28, v28, v62
	ds_bpermute_b32 v62, v130, v61
	v_cndmask_b32_e64 v61, -v61, v61, s35
	s_waitcnt lgkmcnt(0)
	v_add_f32_e32 v61, v61, v62
	ds_bpermute_b32 v62, v132, v28
	v_cndmask_b32_e64 v28, -v28, v28, s37
	ds_bpermute_b32 v65, v132, v61
	v_cndmask_b32_e64 v68, -v61, v61, s37
	s_waitcnt lgkmcnt(1)
	v_add_f32_e32 v61, v28, v62
	v_add_f32_e32 v28, v63, v66
	s_waitcnt lgkmcnt(0)
	v_add_f32_e32 v62, v68, v65
	ds_bpermute_b32 v63, v130, v28
	v_cndmask_b32_e64 v28, -v28, v28, s35
	s_waitcnt lgkmcnt(0)
	v_add_f32_e32 v28, v28, v63
	ds_bpermute_b32 v63, v132, v28
	v_cndmask_b32_e64 v28, -v28, v28, s37
	s_waitcnt lgkmcnt(0)
	v_add_f32_e32 v63, v28, v63
	v_add_f32_e32 v28, v64, v67
	ds_bpermute_b32 v64, v130, v28
	v_cndmask_b32_e64 v28, -v28, v28, s35
	s_waitcnt lgkmcnt(0)
	v_add_f32_e32 v28, v28, v64
	ds_bpermute_b32 v64, v132, v28
	v_cndmask_b32_e64 v28, -v28, v28, s37
	s_waitcnt lgkmcnt(0)
	v_add_f32_e32 v64, v28, v64
	ds_bpermute_b32 v28, v134, v57
	v_cndmask_b32_e64 v57, -v57, v57, s36
	ds_write_b128 v138, v[61:64] offset:28672
	ds_bpermute_b32 v61, v134, v58
	v_cndmask_b32_e64 v58, -v58, v58, s36
	ds_bpermute_b32 v62, v134, v59
	v_cndmask_b32_e64 v59, -v59, v59, s36
	;; [unrolled: 2-line block ×3, first 2 shown]
	s_waitcnt lgkmcnt(0)
	s_barrier
	buffer_gl0_inv
	v_add_f32_e32 v28, v57, v28
	v_add_f32_e32 v57, v58, v61
	ds_bpermute_b32 v58, v130, v28
	v_cndmask_b32_e64 v28, -v28, v28, s35
	s_waitcnt lgkmcnt(0)
	v_add_f32_e32 v28, v28, v58
	ds_bpermute_b32 v58, v130, v57
	v_cndmask_b32_e64 v57, -v57, v57, s35
	s_waitcnt lgkmcnt(0)
	v_add_f32_e32 v57, v57, v58
	ds_bpermute_b32 v58, v132, v28
	v_cndmask_b32_e64 v28, -v28, v28, s37
	ds_bpermute_b32 v61, v132, v57
	v_cndmask_b32_e64 v57, -v57, v57, s37
	s_waitcnt lgkmcnt(1)
	v_add_f32_e32 v125, v28, v58
	v_add_f32_e32 v28, v59, v62
	s_waitcnt lgkmcnt(0)
	v_add_f32_e32 v126, v57, v61
	ds_bpermute_b32 v57, v130, v28
	v_cndmask_b32_e64 v28, -v28, v28, s35
	s_waitcnt lgkmcnt(0)
	v_add_f32_e32 v28, v28, v57
	ds_bpermute_b32 v57, v132, v28
	v_cndmask_b32_e64 v28, -v28, v28, s37
	s_waitcnt lgkmcnt(0)
	v_add_f32_e32 v127, v28, v57
	v_add_f32_e32 v28, v60, v63
	ds_bpermute_b32 v57, v130, v28
	v_cndmask_b32_e64 v28, -v28, v28, s35
	s_waitcnt lgkmcnt(0)
	v_add_f32_e32 v28, v28, v57
	ds_bpermute_b32 v57, v132, v28
	v_cndmask_b32_e64 v28, -v28, v28, s37
	s_waitcnt lgkmcnt(0)
	v_add_f32_e32 v128, v28, v57
	ds_bpermute_b32 v28, v134, v53
	ds_read_b128 v[81:84], v136
	ds_read_b128 v[85:88], v136 offset:4096
	ds_read_b128 v[73:76], v136 offset:8192
	;; [unrolled: 1-line block ×7, first 2 shown]
	s_waitcnt lgkmcnt(0)
	s_barrier
	buffer_gl0_inv
	ds_write_b128 v138, v[125:128]
	ds_bpermute_b32 v125, v134, v54
	v_cndmask_b32_e64 v53, -v53, v53, s36
	v_cndmask_b32_e64 v54, -v54, v54, s36
	ds_bpermute_b32 v126, v134, v55
	v_cndmask_b32_e64 v55, -v55, v55, s36
	ds_bpermute_b32 v127, v134, v56
	v_cndmask_b32_e64 v56, -v56, v56, s36
	v_add_f32_e32 v232, v81, v85
	v_add_f32_e32 v233, v82, v86
	;; [unrolled: 1-line block ×11, first 2 shown]
	s_waitcnt lgkmcnt(2)
	v_add_f32_e32 v53, v54, v125
	ds_bpermute_b32 v54, v130, v28
	v_cndmask_b32_e64 v28, -v28, v28, s35
	v_add_f32_e32 v196, v240, v244
	v_add_f32_e32 v238, v75, v79
	;; [unrolled: 1-line block ×17, first 2 shown]
	s_waitcnt lgkmcnt(0)
	v_add_f32_e32 v28, v28, v54
	ds_bpermute_b32 v54, v130, v53
	v_cndmask_b32_e64 v53, -v53, v53, s35
	v_add_f32_e32 v158, v195, v199
	s_waitcnt lgkmcnt(0)
	v_add_f32_e32 v53, v53, v54
	ds_bpermute_b32 v54, v132, v28
	v_cndmask_b32_e64 v28, -v28, v28, s37
	ds_bpermute_b32 v125, v132, v53
	v_cndmask_b32_e64 v128, -v53, v53, s37
	s_waitcnt lgkmcnt(1)
	v_add_f32_e32 v53, v28, v54
	v_add_f32_e32 v28, v55, v126
	s_waitcnt lgkmcnt(0)
	v_add_f32_e32 v54, v128, v125
	ds_bpermute_b32 v55, v130, v28
	v_cndmask_b32_e64 v28, -v28, v28, s35
	s_waitcnt lgkmcnt(0)
	v_add_f32_e32 v28, v28, v55
	ds_bpermute_b32 v55, v132, v28
	v_cndmask_b32_e64 v28, -v28, v28, s37
	s_waitcnt lgkmcnt(0)
	v_add_f32_e32 v55, v28, v55
	v_add_f32_e32 v28, v56, v127
	ds_bpermute_b32 v56, v130, v28
	v_cndmask_b32_e64 v28, -v28, v28, s35
	s_waitcnt lgkmcnt(0)
	v_add_f32_e32 v28, v28, v56
	ds_bpermute_b32 v56, v132, v28
	v_cndmask_b32_e64 v28, -v28, v28, s37
	s_waitcnt lgkmcnt(0)
	v_add_f32_e32 v56, v28, v56
	ds_bpermute_b32 v28, v134, v49
	v_cndmask_b32_e64 v49, -v49, v49, s36
	ds_write_b128 v138, v[53:56] offset:4096
	ds_bpermute_b32 v53, v134, v50
	v_cndmask_b32_e64 v50, -v50, v50, s36
	ds_bpermute_b32 v54, v134, v51
	v_cndmask_b32_e64 v51, -v51, v51, s36
	;; [unrolled: 2-line block ×3, first 2 shown]
	s_waitcnt lgkmcnt(4)
	v_add_f32_e32 v28, v49, v28
	s_waitcnt lgkmcnt(2)
	v_add_f32_e32 v49, v50, v53
	ds_bpermute_b32 v50, v130, v28
	v_cndmask_b32_e64 v28, -v28, v28, s35
	s_waitcnt lgkmcnt(0)
	v_add_f32_e32 v28, v28, v50
	ds_bpermute_b32 v50, v130, v49
	v_cndmask_b32_e64 v49, -v49, v49, s35
	s_waitcnt lgkmcnt(0)
	v_add_f32_e32 v49, v49, v50
	ds_bpermute_b32 v50, v132, v28
	v_cndmask_b32_e64 v28, -v28, v28, s37
	ds_bpermute_b32 v53, v132, v49
	v_cndmask_b32_e64 v56, -v49, v49, s37
	s_waitcnt lgkmcnt(1)
	v_add_f32_e32 v49, v28, v50
	v_add_f32_e32 v28, v51, v54
	s_waitcnt lgkmcnt(0)
	v_add_f32_e32 v50, v56, v53
	ds_bpermute_b32 v56, v134, v24
	ds_bpermute_b32 v51, v130, v28
	v_cndmask_b32_e64 v28, -v28, v28, s35
	v_cndmask_b32_e64 v24, -v24, v24, s36
	s_waitcnt lgkmcnt(1)
	v_add_f32_e32 v24, v24, v56
	s_waitcnt lgkmcnt(0)
	v_add_f32_e32 v28, v28, v51
	ds_bpermute_b32 v56, v130, v24
	ds_bpermute_b32 v51, v132, v28
	v_cndmask_b32_e64 v28, -v28, v28, s37
	v_cndmask_b32_e64 v24, -v24, v24, s35
	s_waitcnt lgkmcnt(1)
	v_add_f32_e32 v24, v24, v56
	s_waitcnt lgkmcnt(0)
	v_add_f32_e32 v51, v28, v51
	v_add_f32_e32 v28, v52, v55
	ds_bpermute_b32 v52, v130, v28
	v_cndmask_b32_e64 v28, -v28, v28, s35
	s_waitcnt lgkmcnt(0)
	v_add_f32_e32 v28, v28, v52
	ds_bpermute_b32 v52, v132, v28
	v_cndmask_b32_e64 v28, -v28, v28, s37
	s_waitcnt lgkmcnt(0)
	v_add_f32_e32 v52, v28, v52
	ds_bpermute_b32 v28, v134, v45
	v_cndmask_b32_e64 v45, -v45, v45, s36
	ds_write_b128 v138, v[49:52] offset:8192
	ds_bpermute_b32 v49, v134, v46
	v_cndmask_b32_e64 v46, -v46, v46, s36
	ds_bpermute_b32 v50, v134, v47
	v_cndmask_b32_e64 v47, -v47, v47, s36
	ds_bpermute_b32 v51, v134, v48
	v_cndmask_b32_e64 v48, -v48, v48, s36
	s_waitcnt lgkmcnt(4)
	v_add_f32_e32 v28, v45, v28
	s_waitcnt lgkmcnt(2)
	v_add_f32_e32 v45, v46, v49
	ds_bpermute_b32 v46, v130, v28
	v_cndmask_b32_e64 v28, -v28, v28, s35
	s_waitcnt lgkmcnt(0)
	v_add_f32_e32 v28, v28, v46
	ds_bpermute_b32 v46, v130, v45
	v_cndmask_b32_e64 v45, -v45, v45, s35
	s_waitcnt lgkmcnt(0)
	v_add_f32_e32 v45, v45, v46
	ds_bpermute_b32 v46, v132, v28
	v_cndmask_b32_e64 v28, -v28, v28, s37
	ds_bpermute_b32 v49, v132, v45
	v_cndmask_b32_e64 v52, -v45, v45, s37
	s_waitcnt lgkmcnt(1)
	v_add_f32_e32 v45, v28, v46
	v_add_f32_e32 v28, v47, v50
	s_waitcnt lgkmcnt(0)
	v_add_f32_e32 v46, v52, v49
	ds_bpermute_b32 v47, v130, v28
	v_cndmask_b32_e64 v28, -v28, v28, s35
	s_waitcnt lgkmcnt(0)
	v_add_f32_e32 v28, v28, v47
	ds_bpermute_b32 v47, v132, v28
	v_cndmask_b32_e64 v28, -v28, v28, s37
	s_waitcnt lgkmcnt(0)
	v_add_f32_e32 v47, v28, v47
	v_add_f32_e32 v28, v48, v51
	ds_bpermute_b32 v48, v130, v28
	v_cndmask_b32_e64 v28, -v28, v28, s35
	s_waitcnt lgkmcnt(0)
	v_add_f32_e32 v28, v28, v48
	ds_bpermute_b32 v48, v132, v28
	v_cndmask_b32_e64 v28, -v28, v28, s37
	s_waitcnt lgkmcnt(0)
	v_add_f32_e32 v48, v28, v48
	ds_bpermute_b32 v28, v134, v41
	v_cndmask_b32_e64 v41, -v41, v41, s36
	ds_write_b128 v138, v[45:48] offset:12288
	ds_bpermute_b32 v45, v134, v42
	v_cndmask_b32_e64 v42, -v42, v42, s36
	ds_bpermute_b32 v46, v134, v43
	v_cndmask_b32_e64 v43, -v43, v43, s36
	ds_bpermute_b32 v47, v134, v44
	v_cndmask_b32_e64 v44, -v44, v44, s36
	s_waitcnt lgkmcnt(4)
	v_add_f32_e32 v28, v41, v28
	s_waitcnt lgkmcnt(2)
	v_add_f32_e32 v41, v42, v45
	ds_bpermute_b32 v42, v130, v28
	v_cndmask_b32_e64 v28, -v28, v28, s35
	s_waitcnt lgkmcnt(0)
	v_add_f32_e32 v28, v28, v42
	ds_bpermute_b32 v42, v130, v41
	v_cndmask_b32_e64 v41, -v41, v41, s35
	s_waitcnt lgkmcnt(0)
	v_add_f32_e32 v41, v41, v42
	ds_bpermute_b32 v42, v132, v28
	v_cndmask_b32_e64 v28, -v28, v28, s37
	ds_bpermute_b32 v45, v132, v41
	v_cndmask_b32_e64 v48, -v41, v41, s37
	s_waitcnt lgkmcnt(1)
	v_add_f32_e32 v41, v28, v42
	v_add_f32_e32 v28, v43, v46
	s_waitcnt lgkmcnt(0)
	v_add_f32_e32 v42, v48, v45
	ds_bpermute_b32 v43, v130, v28
	v_cndmask_b32_e64 v28, -v28, v28, s35
	s_waitcnt lgkmcnt(0)
	v_add_f32_e32 v28, v28, v43
	ds_bpermute_b32 v43, v132, v28
	v_cndmask_b32_e64 v28, -v28, v28, s37
	;; [unrolled: 47-line block ×4, first 2 shown]
	s_waitcnt lgkmcnt(0)
	v_add_f32_e32 v35, v28, v35
	v_add_f32_e32 v28, v36, v39
	ds_bpermute_b32 v36, v130, v28
	v_cndmask_b32_e64 v28, -v28, v28, s35
	s_waitcnt lgkmcnt(0)
	v_add_f32_e32 v28, v28, v36
	ds_bpermute_b32 v36, v132, v28
	v_cndmask_b32_e64 v28, -v28, v28, s37
	s_waitcnt lgkmcnt(0)
	v_add_f32_e32 v36, v28, v36
	ds_bpermute_b32 v28, v134, v29
	v_cndmask_b32_e64 v29, -v29, v29, s36
	ds_write_b128 v138, v[33:36] offset:24576
	ds_bpermute_b32 v33, v134, v30
	v_cndmask_b32_e64 v30, -v30, v30, s36
	ds_bpermute_b32 v34, v134, v31
	v_cndmask_b32_e64 v31, -v31, v31, s36
	;; [unrolled: 2-line block ×3, first 2 shown]
	s_waitcnt lgkmcnt(4)
	v_add_f32_e32 v28, v29, v28
	s_waitcnt lgkmcnt(2)
	v_add_f32_e32 v29, v30, v33
	ds_bpermute_b32 v30, v130, v28
	v_cndmask_b32_e64 v28, -v28, v28, s35
	s_waitcnt lgkmcnt(0)
	v_add_f32_e32 v28, v28, v30
	ds_bpermute_b32 v30, v130, v29
	v_cndmask_b32_e64 v29, -v29, v29, s35
	;; [unrolled: 4-line block ×3, first 2 shown]
	ds_bpermute_b32 v33, v132, v29
	v_cndmask_b32_e64 v29, -v29, v29, s37
	s_waitcnt lgkmcnt(1)
	v_add_f32_e32 v28, v28, v30
	v_add_f32_e32 v30, v31, v34
	ds_bpermute_b32 v34, v134, v124
	s_waitcnt lgkmcnt(1)
	v_add_f32_e32 v29, v29, v33
	v_cndmask_b32_e64 v33, -v123, v123, s36
	ds_bpermute_b32 v31, v130, v30
	v_cndmask_b32_e64 v30, -v30, v30, s35
	s_waitcnt lgkmcnt(0)
	v_add_f32_e32 v30, v30, v31
	ds_bpermute_b32 v31, v132, v30
	v_cndmask_b32_e64 v30, -v30, v30, s37
	s_waitcnt lgkmcnt(0)
	v_add_f32_e32 v30, v30, v31
	v_add_f32_e32 v31, v32, v35
	v_cndmask_b32_e64 v35, -v124, v124, s36
	ds_bpermute_b32 v32, v130, v31
	v_cndmask_b32_e64 v31, -v31, v31, s35
	s_waitcnt lgkmcnt(0)
	v_add_f32_e32 v31, v31, v32
	ds_bpermute_b32 v32, v132, v31
	v_cndmask_b32_e64 v31, -v31, v31, s37
	s_waitcnt lgkmcnt(0)
	v_add_f32_e32 v31, v31, v32
	v_cndmask_b32_e64 v32, -v122, v122, s36
	ds_write_b128 v138, v[28:31] offset:28672
	ds_bpermute_b32 v28, v134, v121
	v_cndmask_b32_e64 v31, -v121, v121, s36
	ds_bpermute_b32 v29, v134, v122
	ds_bpermute_b32 v30, v134, v123
	s_waitcnt lgkmcnt(0)
	s_barrier
	buffer_gl0_inv
	v_add_f32_e32 v28, v31, v28
	v_add_f32_e32 v29, v32, v29
	ds_bpermute_b32 v31, v130, v28
	v_cndmask_b32_e64 v28, -v28, v28, s35
	s_waitcnt lgkmcnt(0)
	v_add_f32_e32 v28, v28, v31
	ds_bpermute_b32 v31, v130, v29
	v_cndmask_b32_e64 v29, -v29, v29, s35
	s_waitcnt lgkmcnt(0)
	v_add_f32_e32 v29, v29, v31
	ds_bpermute_b32 v31, v132, v28
	v_cndmask_b32_e64 v28, -v28, v28, s37
	ds_bpermute_b32 v32, v132, v29
	v_cndmask_b32_e64 v29, -v29, v29, s37
	s_waitcnt lgkmcnt(1)
	v_add_f32_e32 v125, v28, v31
	v_add_f32_e32 v28, v33, v30
	s_waitcnt lgkmcnt(0)
	v_add_f32_e32 v126, v29, v32
	ds_bpermute_b32 v29, v130, v28
	v_cndmask_b32_e64 v28, -v28, v28, s35
	s_waitcnt lgkmcnt(0)
	v_add_f32_e32 v28, v28, v29
	ds_bpermute_b32 v29, v132, v28
	v_cndmask_b32_e64 v28, -v28, v28, s37
	s_waitcnt lgkmcnt(0)
	v_add_f32_e32 v127, v28, v29
	v_add_f32_e32 v28, v35, v34
	ds_bpermute_b32 v29, v130, v28
	v_cndmask_b32_e64 v28, -v28, v28, s35
	s_waitcnt lgkmcnt(0)
	v_add_f32_e32 v28, v28, v29
	ds_bpermute_b32 v29, v132, v28
	v_cndmask_b32_e64 v28, -v28, v28, s37
	s_waitcnt lgkmcnt(0)
	v_add_f32_e32 v128, v28, v29
	ds_read_b128 v[52:55], v136
	ds_read_b128 v[121:124], v136 offset:4096
	ds_read_b128 v[44:47], v136 offset:8192
	;; [unrolled: 1-line block ×7, first 2 shown]
	s_waitcnt lgkmcnt(0)
	s_barrier
	buffer_gl0_inv
	ds_write_b128 v138, v[125:128]
	ds_bpermute_b32 v125, v134, v25
	v_cndmask_b32_e64 v25, -v25, v25, s36
	ds_bpermute_b32 v126, v134, v26
	v_cndmask_b32_e64 v26, -v26, v26, s36
	;; [unrolled: 2-line block ×3, first 2 shown]
	v_add_f32_e32 v248, v52, v121
	v_add_f32_e32 v249, v53, v122
	;; [unrolled: 1-line block ×11, first 2 shown]
	s_waitcnt lgkmcnt(2)
	v_add_f32_e32 v25, v25, v125
	v_add_f32_e32 v204, v167, v171
	s_waitcnt lgkmcnt(1)
	v_add_f32_e32 v26, v26, v126
	v_add_f32_e32 v169, v38, v42
	s_waitcnt lgkmcnt(0)
	v_add_f32_e32 v27, v27, v127
	ds_bpermute_b32 v56, v130, v25
	v_cndmask_b32_e64 v25, -v25, v25, s35
	v_add_f32_e32 v173, v30, v34
	v_add_f32_e32 v201, v249, v253
	;; [unrolled: 1-line block ×15, first 2 shown]
	s_waitcnt lgkmcnt(0)
	v_add_f32_e32 v25, v25, v56
	ds_bpermute_b32 v56, v132, v24
	v_cndmask_b32_e64 v24, -v24, v24, s37
	ds_bpermute_b32 v125, v132, v25
	v_cndmask_b32_e64 v25, -v25, v25, s37
	s_waitcnt lgkmcnt(1)
	v_add_f32_e32 v24, v24, v56
	ds_bpermute_b32 v56, v130, v26
	v_cndmask_b32_e64 v26, -v26, v26, s35
	s_waitcnt lgkmcnt(1)
	v_add_f32_e32 v25, v25, v125
	s_waitcnt lgkmcnt(0)
	v_add_f32_e32 v26, v26, v56
	ds_bpermute_b32 v56, v132, v26
	v_cndmask_b32_e64 v26, -v26, v26, s37
	s_waitcnt lgkmcnt(0)
	v_add_f32_e32 v26, v26, v56
	ds_bpermute_b32 v56, v130, v27
	v_cndmask_b32_e64 v27, -v27, v27, s35
	;; [unrolled: 4-line block ×3, first 2 shown]
	s_waitcnt lgkmcnt(0)
	v_add_f32_e32 v27, v27, v56
	v_add_f32_e32 v56, v184, v188
	ds_write_b128 v138, v[24:27] offset:4096
	ds_bpermute_b32 v24, v134, v20
	v_cndmask_b32_e64 v20, -v20, v20, s36
	ds_bpermute_b32 v25, v134, v21
	v_cndmask_b32_e64 v21, -v21, v21, s36
	ds_bpermute_b32 v26, v134, v22
	v_cndmask_b32_e64 v22, -v22, v22, s36
	ds_bpermute_b32 v27, v134, v23
	v_cndmask_b32_e64 v23, -v23, v23, s36
	s_waitcnt lgkmcnt(3)
	v_add_f32_e32 v20, v20, v24
	s_waitcnt lgkmcnt(2)
	v_add_f32_e32 v21, v21, v25
	s_waitcnt lgkmcnt(1)
	v_add_f32_e32 v22, v22, v26
	ds_bpermute_b32 v24, v130, v20
	v_cndmask_b32_e64 v20, -v20, v20, s35
	s_waitcnt lgkmcnt(1)
	v_add_f32_e32 v23, v23, v27
	s_waitcnt lgkmcnt(0)
	v_add_f32_e32 v20, v20, v24
	ds_bpermute_b32 v24, v130, v21
	v_cndmask_b32_e64 v21, -v21, v21, s35
	s_waitcnt lgkmcnt(0)
	v_add_f32_e32 v21, v21, v24
	ds_bpermute_b32 v24, v132, v20
	v_cndmask_b32_e64 v20, -v20, v20, s37
	ds_bpermute_b32 v25, v132, v21
	v_cndmask_b32_e64 v21, -v21, v21, s37
	s_waitcnt lgkmcnt(1)
	v_add_f32_e32 v20, v20, v24
	ds_bpermute_b32 v24, v130, v22
	v_cndmask_b32_e64 v22, -v22, v22, s35
	s_waitcnt lgkmcnt(1)
	v_add_f32_e32 v21, v21, v25
	s_waitcnt lgkmcnt(0)
	v_add_f32_e32 v22, v22, v24
	ds_bpermute_b32 v24, v132, v22
	v_cndmask_b32_e64 v22, -v22, v22, s37
	s_waitcnt lgkmcnt(0)
	v_add_f32_e32 v22, v22, v24
	ds_bpermute_b32 v24, v130, v23
	v_cndmask_b32_e64 v23, -v23, v23, s35
	s_waitcnt lgkmcnt(0)
	v_add_f32_e32 v23, v23, v24
	ds_bpermute_b32 v24, v132, v23
	v_cndmask_b32_e64 v23, -v23, v23, s37
	s_waitcnt lgkmcnt(0)
	v_add_f32_e32 v23, v23, v24
	ds_write_b128 v138, v[20:23] offset:8192
	ds_bpermute_b32 v20, v134, v16
	v_cndmask_b32_e64 v16, -v16, v16, s36
	ds_bpermute_b32 v21, v134, v17
	v_cndmask_b32_e64 v17, -v17, v17, s36
	ds_bpermute_b32 v22, v134, v18
	v_cndmask_b32_e64 v18, -v18, v18, s36
	ds_bpermute_b32 v23, v134, v19
	v_cndmask_b32_e64 v19, -v19, v19, s36
	s_waitcnt lgkmcnt(3)
	v_add_f32_e32 v16, v16, v20
	s_waitcnt lgkmcnt(2)
	v_add_f32_e32 v17, v17, v21
	s_waitcnt lgkmcnt(1)
	v_add_f32_e32 v18, v18, v22
	ds_bpermute_b32 v20, v130, v16
	v_cndmask_b32_e64 v16, -v16, v16, s35
	s_waitcnt lgkmcnt(1)
	v_add_f32_e32 v19, v19, v23
	s_waitcnt lgkmcnt(0)
	v_add_f32_e32 v16, v16, v20
	ds_bpermute_b32 v20, v130, v17
	v_cndmask_b32_e64 v17, -v17, v17, s35
	s_waitcnt lgkmcnt(0)
	v_add_f32_e32 v17, v17, v20
	ds_bpermute_b32 v20, v132, v16
	v_cndmask_b32_e64 v16, -v16, v16, s37
	ds_bpermute_b32 v21, v132, v17
	v_cndmask_b32_e64 v17, -v17, v17, s37
	s_waitcnt lgkmcnt(1)
	v_add_f32_e32 v16, v16, v20
	ds_bpermute_b32 v20, v130, v18
	v_cndmask_b32_e64 v18, -v18, v18, s35
	s_waitcnt lgkmcnt(1)
	v_add_f32_e32 v17, v17, v21
	s_waitcnt lgkmcnt(0)
	v_add_f32_e32 v18, v18, v20
	ds_bpermute_b32 v20, v132, v18
	v_cndmask_b32_e64 v18, -v18, v18, s37
	s_waitcnt lgkmcnt(0)
	v_add_f32_e32 v18, v18, v20
	ds_bpermute_b32 v20, v130, v19
	v_cndmask_b32_e64 v19, -v19, v19, s35
	s_waitcnt lgkmcnt(0)
	v_add_f32_e32 v19, v19, v20
	ds_bpermute_b32 v20, v132, v19
	v_cndmask_b32_e64 v19, -v19, v19, s37
	s_waitcnt lgkmcnt(0)
	;; [unrolled: 49-line block ×5, first 2 shown]
	v_add_f32_e32 v7, v7, v8
	ds_write_b128 v138, v[4:7] offset:24576
	ds_bpermute_b32 v4, v134, v0
	v_cndmask_b32_e64 v0, -v0, v0, s36
	ds_bpermute_b32 v5, v134, v1
	v_cndmask_b32_e64 v1, -v1, v1, s36
	;; [unrolled: 2-line block ×4, first 2 shown]
	v_add_f32_e32 v134, v187, v191
	s_mul_i32 s36, s46, s48
	s_waitcnt lgkmcnt(3)
	v_add_f32_e32 v0, v0, v4
	s_waitcnt lgkmcnt(2)
	v_add_f32_e32 v1, v1, v5
	s_waitcnt lgkmcnt(1)
	v_add_f32_e32 v2, v2, v6
	ds_bpermute_b32 v4, v130, v0
	v_cndmask_b32_e64 v0, -v0, v0, s35
	s_waitcnt lgkmcnt(1)
	v_add_f32_e32 v3, v3, v7
	s_waitcnt lgkmcnt(0)
	v_add_f32_e32 v0, v0, v4
	ds_bpermute_b32 v4, v130, v1
	v_cndmask_b32_e64 v1, -v1, v1, s35
	s_waitcnt lgkmcnt(0)
	v_add_f32_e32 v1, v1, v4
	ds_bpermute_b32 v4, v132, v0
	v_cndmask_b32_e64 v0, -v0, v0, s37
	ds_bpermute_b32 v5, v132, v1
	v_cndmask_b32_e64 v1, -v1, v1, s37
	s_waitcnt lgkmcnt(1)
	v_add_f32_e32 v0, v0, v4
	ds_bpermute_b32 v4, v130, v2
	v_cndmask_b32_e64 v2, -v2, v2, s35
	s_waitcnt lgkmcnt(1)
	v_add_f32_e32 v1, v1, v5
	s_waitcnt lgkmcnt(0)
	v_add_f32_e32 v2, v2, v4
	ds_bpermute_b32 v4, v132, v2
	v_cndmask_b32_e64 v2, -v2, v2, s37
	s_waitcnt lgkmcnt(0)
	v_add_f32_e32 v2, v2, v4
	ds_bpermute_b32 v4, v130, v3
	v_cndmask_b32_e64 v3, -v3, v3, s35
	v_add_f32_e32 v130, v185, v189
	s_load_dword s35, s[4:5], 0x20
	s_mul_i32 s5, s47, s6
	s_waitcnt lgkmcnt(0)
	v_add_f32_e32 v3, v3, v4
	ds_bpermute_b32 v4, v132, v3
	v_cndmask_b32_e64 v3, -v3, v3, s37
	v_add_f32_e32 v132, v186, v190
	s_mul_hi_u32 s37, s46, s6
	s_add_i32 s4, s37, s36
	s_add_i32 s5, s4, s5
	s_mul_i32 s4, s46, s6
	s_lshl_b64 s[4:5], s[4:5], 2
	s_add_u32 s4, s42, s4
	s_addc_u32 s5, s43, s5
	s_waitcnt lgkmcnt(0)
	v_add_f32_e32 v3, v3, v4
	ds_write_b128 v138, v[0:3] offset:28672
	s_waitcnt lgkmcnt(0)
	s_barrier
	buffer_gl0_inv
	ds_read_b128 v[0:3], v136
	ds_read_b128 v[4:7], v136 offset:4096
	ds_read_b128 v[8:11], v136 offset:8192
	;; [unrolled: 1-line block ×7, first 2 shown]
	buffer_store_dword v56, off, s[52:55], 0 offset:8 ; 4-byte Folded Spill
	v_add_f32_e32 v56, v56, v152
	buffer_store_dword v56, off, s[52:55], 0 offset:216 ; 4-byte Folded Spill
	buffer_store_dword v130, off, s[52:55], 0 offset:12 ; 4-byte Folded Spill
	v_add_f32_e32 v56, v130, v154
	buffer_store_dword v56, off, s[52:55], 0 offset:220 ; 4-byte Folded Spill
	;; [unrolled: 3-line block ×3, first 2 shown]
	buffer_store_dword v134, off, s[52:55], 0 offset:20 ; 4-byte Folded Spill
	s_waitcnt lgkmcnt(6)
	v_add_f32_e32 v175, v0, v4
	s_waitcnt lgkmcnt(4)
	v_add_f32_e32 v179, v8, v12
	;; [unrolled: 2-line block ×4, first 2 shown]
	v_add_f32_e32 v176, v1, v5
	v_add_f32_e32 v163, v9, v13
	v_add_f32_e32 v135, v17, v21
	v_add_f32_e32 v143, v25, v126
	v_add_f32_e32 v208, v175, v179
	v_add_f32_e32 v212, v133, v141
	v_add_f32_e32 v177, v2, v6
	v_add_f32_e32 v129, v10, v14
	v_add_f32_e32 v137, v18, v22
	v_add_f32_e32 v145, v26, v127
	v_add_f32_e32 v209, v176, v163
	v_add_f32_e32 v213, v135, v143
	v_add_f32_e32 v180, v208, v212
	v_add_f32_e32 v56, v134, v158
	v_add_f32_e32 v178, v3, v7
	v_add_f32_e32 v131, v11, v15
	v_add_f32_e32 v139, v19, v23
	v_add_f32_e32 v147, v27, v128
	v_add_f32_e32 v210, v177, v129
	v_add_f32_e32 v214, v137, v145
	v_add_f32_e32 v181, v209, v213
	buffer_store_dword v56, off, s[52:55], 0 offset:228 ; 4-byte Folded Spill
	v_add_f32_e32 v56, v160, v180
	v_add_f32_e32 v211, v178, v131
	;; [unrolled: 1-line block ×4, first 2 shown]
	buffer_store_dword v56, off, s[52:55], 0 offset:232 ; 4-byte Folded Spill
	v_add_f32_e32 v56, v162, v181
	v_add_f32_e32 v183, v211, v215
	buffer_store_dword v56, off, s[52:55], 0 offset:236 ; 4-byte Folded Spill
	v_add_f32_e32 v56, v164, v182
	buffer_store_dword v56, off, s[52:55], 0 offset:240 ; 4-byte Folded Spill
	;; [unrolled: 2-line block ×3, first 2 shown]
	s_and_saveexec_b32 s6, s33
	s_cbranch_execz .LBB12_66
; %bb.65:
	v_add_f32_e32 v56, v187, v191
	v_add_f32_e32 v130, v166, v183
	;; [unrolled: 1-line block ×8, first 2 shown]
	v_mul_f32_e32 v151, s35, v56
	v_add_f32_e32 v130, v130, v156
	v_add_f32_e32 v130, v130, v132
	;; [unrolled: 1-line block ×3, first 2 shown]
	v_mul_f32_e32 v150, s35, v130
	v_add_f32_e32 v132, v132, v154
	v_add_f32_e32 v132, v132, v134
	;; [unrolled: 1-line block ×3, first 2 shown]
	v_mul_f32_e32 v149, s35, v132
	v_add_f32_e32 v134, v134, v152
	v_add_f32_e32 v134, v134, v136
	v_mul_f32_e32 v148, s35, v134
	global_store_dwordx4 v146, v[148:151], s[4:5]
.LBB12_66:
	s_or_b32 exec_lo, exec_lo, s6
	v_sub_f32_e32 v149, v113, v117
	v_sub_f32_e32 v157, v105, v109
	;; [unrolled: 1-line block ×16, first 2 shown]
	v_add_f32_e32 v69, v149, v157
	v_add_f32_e32 v77, v56, v140
	;; [unrolled: 1-line block ×4, first 2 shown]
	v_sub_f32_e32 v153, v115, v119
	v_sub_f32_e32 v161, v107, v111
	;; [unrolled: 1-line block ×11, first 2 shown]
	v_add_f32_e32 v70, v151, v159
	v_add_f32_e32 v78, v134, v142
	;; [unrolled: 1-line block ×6, first 2 shown]
	v_sub_f32_e32 v155, v116, v120
	v_sub_f32_e32 v165, v108, v112
	v_sub_f32_e32 v138, v100, v104
	v_sub_f32_e32 v146, v92, v96
	v_sub_f32_e32 v150, v84, v88
	v_sub_f32_e32 v76, v76, v80
	v_sub_f32_e32 v68, v68, v72
	v_sub_f32_e32 v60, v60, v64
	v_sub_f32_e32 v1, v1, v5
	v_sub_f32_e32 v5, v9, v13
	v_sub_f32_e32 v9, v17, v21
	v_add_f32_e32 v71, v153, v161
	v_add_f32_e32 v79, v136, v144
	v_add_f32_e32 v83, v148, v75
	v_add_f32_e32 v87, v67, v59
	v_add_f32_e32 v17, v70, v78
	v_add_f32_e32 v21, v82, v86
	v_add_f32_e32 v12, v16, v20
	v_sub_f32_e32 v52, v52, v121
	v_sub_f32_e32 v61, v44, v48
	;; [unrolled: 1-line block ×8, first 2 shown]
	v_add_f32_e32 v72, v155, v165
	v_add_f32_e32 v80, v138, v146
	;; [unrolled: 1-line block ×6, first 2 shown]
	buffer_store_dword v12, off, s[52:55], 0 offset:248 ; 4-byte Folded Spill
	v_add_f32_e32 v12, v17, v21
	v_sub_f32_e32 v53, v53, v122
	v_sub_f32_e32 v62, v45, v49
	;; [unrolled: 1-line block ×8, first 2 shown]
	v_add_f32_e32 v89, v52, v61
	v_add_f32_e32 v93, v40, v121
	;; [unrolled: 1-line block ×6, first 2 shown]
	buffer_store_dword v12, off, s[52:55], 0 offset:252 ; 4-byte Folded Spill
	v_add_f32_e32 v12, v18, v22
	v_sub_f32_e32 v54, v54, v123
	v_sub_f32_e32 v63, v46, v50
	;; [unrolled: 1-line block ×5, first 2 shown]
	v_add_f32_e32 v90, v53, v62
	v_add_f32_e32 v94, v41, v122
	;; [unrolled: 1-line block ×6, first 2 shown]
	buffer_store_dword v12, off, s[52:55], 0 offset:256 ; 4-byte Folded Spill
	v_add_f32_e32 v12, v19, v23
	v_sub_f32_e32 v55, v55, v124
	v_sub_f32_e32 v64, v47, v51
	;; [unrolled: 1-line block ×5, first 2 shown]
	v_add_f32_e32 v91, v54, v63
	v_add_f32_e32 v95, v42, v123
	;; [unrolled: 1-line block ×6, first 2 shown]
	buffer_store_dword v12, off, s[52:55], 0 offset:260 ; 4-byte Folded Spill
	v_add_f32_e32 v12, v24, v28
	v_add_f32_e32 v92, v55, v64
	;; [unrolled: 1-line block ×7, first 2 shown]
	buffer_store_dword v12, off, s[52:55], 0 offset:264 ; 4-byte Folded Spill
	v_add_f32_e32 v12, v25, v29
	v_add_f32_e32 v27, v92, v96
	;; [unrolled: 1-line block ×3, first 2 shown]
	buffer_store_dword v12, off, s[52:55], 0 offset:268 ; 4-byte Folded Spill
	v_add_f32_e32 v12, v26, v30
	buffer_store_dword v12, off, s[52:55], 0 offset:272 ; 4-byte Folded Spill
	v_add_f32_e32 v12, v27, v31
	buffer_store_dword v12, off, s[52:55], 0 offset:276 ; 4-byte Folded Spill
	s_and_saveexec_b32 s6, s31
	s_cbranch_execz .LBB12_68
; %bb.67:
	v_add_f32_e32 v12, v16, v20
	v_add_f32_e32 v13, v24, v28
	;; [unrolled: 1-line block ×7, first 2 shown]
	v_mul_f32_e32 v12, s35, v12
	v_add_f32_e32 v13, v13, v14
	v_add_f32_e32 v14, v18, v22
	v_mul_f32_e32 v13, s35, v13
	v_add_f32_e32 v14, v14, v15
	v_add_f32_e32 v15, v19, v23
	v_mul_f32_e32 v14, s35, v14
	v_add_f32_e32 v15, v15, v32
	buffer_load_dword v32, off, s[52:55], 0 offset:212 ; 4-byte Folded Reload
	v_mul_f32_e32 v15, s35, v15
	s_waitcnt vmcnt(0)
	global_store_dwordx4 v32, v[12:15], s[4:5]
.LBB12_68:
	s_or_b32 exec_lo, exec_lo, s6
	v_sub_f32_e32 v105, v216, v220
	v_sub_f32_e32 v106, v217, v221
	;; [unrolled: 1-line block ×32, first 2 shown]
	v_add_f32_e32 v32, v105, v109
	v_add_f32_e32 v33, v106, v110
	;; [unrolled: 1-line block ×24, first 2 shown]
	s_and_saveexec_b32 s6, s30
	s_cbranch_execz .LBB12_70
; %bb.69:
	v_add_f32_e32 v141, v241, v12
	v_add_f32_e32 v143, v242, v13
	v_add_f32_e32 v145, v243, v14
	v_add_f32_e32 v147, v244, v15
	v_mul_f32_e32 v167, s35, v141
	buffer_load_dword v141, off, s[52:55], 0 offset:208 ; 4-byte Folded Reload
	v_mul_f32_e32 v168, s35, v143
	v_mul_f32_e32 v169, s35, v145
	;; [unrolled: 1-line block ×3, first 2 shown]
	s_waitcnt vmcnt(0)
	global_store_dwordx4 v141, v[167:170], s[4:5]
.LBB12_70:
	s_or_b32 exec_lo, exec_lo, s6
	v_sub_f32_e32 v141, v149, v157
	v_sub_f32_e32 v143, v151, v159
	;; [unrolled: 1-line block ×32, first 2 shown]
	v_add_f32_e32 v57, v141, v56
	v_add_f32_e32 v58, v143, v134
	;; [unrolled: 1-line block ×24, first 2 shown]
	s_and_saveexec_b32 s6, s29
	s_cbranch_execz .LBB12_72
; %bb.71:
	buffer_load_dword v4, off, s[52:55], 0 offset:204 ; 4-byte Folded Reload
	v_add_f32_e32 v0, v40, v52
	v_add_f32_e32 v1, v41, v53
	v_add_f32_e32 v2, v42, v54
	v_add_f32_e32 v3, v43, v55
	v_mul_f32_e32 v0, s35, v0
	v_mul_f32_e32 v1, s35, v1
	v_mul_f32_e32 v2, s35, v2
	v_mul_f32_e32 v3, s35, v3
	s_waitcnt vmcnt(0)
	global_store_dwordx4 v4, v[0:3], s[4:5]
.LBB12_72:
	s_or_b32 exec_lo, exec_lo, s6
	v_sub_f32_e32 v176, v184, v188
	v_sub_f32_e32 v177, v185, v189
	v_sub_f32_e32 v178, v186, v190
	v_sub_f32_e32 v179, v187, v191
	v_sub_f32_e32 v184, v192, v196
	v_sub_f32_e32 v185, v193, v197
	v_sub_f32_e32 v186, v194, v198
	v_sub_f32_e32 v187, v195, v199
	v_sub_f32_e32 v188, v200, v204
	v_sub_f32_e32 v189, v201, v205
	v_sub_f32_e32 v190, v202, v206
	v_sub_f32_e32 v191, v203, v207
	v_sub_f32_e32 v192, v208, v212
	v_sub_f32_e32 v193, v209, v213
	v_sub_f32_e32 v194, v210, v214
	v_sub_f32_e32 v195, v211, v215
	v_add_f32_e32 v65, v176, v184
	v_add_f32_e32 v66, v177, v185
	v_add_f32_e32 v67, v178, v186
	v_add_f32_e32 v68, v179, v187
	v_add_f32_e32 v73, v188, v192
	v_add_f32_e32 v74, v189, v193
	v_add_f32_e32 v75, v190, v194
	v_add_f32_e32 v76, v191, v195
	s_and_saveexec_b32 s6, s28
	s_cbranch_execz .LBB12_74
; %bb.73:
	buffer_load_dword v4, off, s[52:55], 0 offset:200 ; 4-byte Folded Reload
	v_add_f32_e32 v0, v65, v73
	v_add_f32_e32 v1, v66, v74
	v_add_f32_e32 v2, v67, v75
	v_add_f32_e32 v3, v68, v76
	v_mul_f32_e32 v0, s35, v0
	v_mul_f32_e32 v1, s35, v1
	v_mul_f32_e32 v2, s35, v2
	v_mul_f32_e32 v3, s35, v3
	s_waitcnt vmcnt(0)
	global_store_dwordx4 v4, v[0:3], s[4:5]
.LBB12_74:
	s_or_b32 exec_lo, exec_lo, s6
	v_sub_f32_e32 v175, v69, v77
	v_sub_f32_e32 v196, v70, v78
	v_sub_f32_e32 v197, v71, v79
	v_sub_f32_e32 v198, v72, v80
	v_sub_f32_e32 v205, v81, v85
	v_sub_f32_e32 v206, v82, v86
	v_sub_f32_e32 v207, v83, v87
	v_sub_f32_e32 v208, v84, v88
	v_sub_f32_e32 v209, v89, v93
	v_sub_f32_e32 v210, v90, v94
	v_sub_f32_e32 v211, v91, v95
	v_sub_f32_e32 v212, v92, v96
	v_sub_f32_e32 v167, v97, v101
	v_sub_f32_e32 v168, v98, v102
	v_sub_f32_e32 v169, v99, v103
	v_sub_f32_e32 v170, v100, v104
	v_add_f32_e32 v81, v175, v205
	v_add_f32_e32 v82, v196, v206
	v_add_f32_e32 v83, v197, v207
	v_add_f32_e32 v84, v198, v208
	v_add_f32_e32 v89, v209, v167
	v_add_f32_e32 v90, v210, v168
	v_add_f32_e32 v91, v211, v169
	v_add_f32_e32 v92, v212, v170
	;; [unrolled: 40-line block ×4, first 2 shown]
	s_and_saveexec_b32 s6, vcc_lo
	s_cbranch_execz .LBB12_80
; %bb.79:
	buffer_load_dword v4, off, s[52:55], 0 offset:160 ; 4-byte Folded Reload
	v_add_f32_e32 v0, v113, v117
	v_add_f32_e32 v1, v114, v118
	;; [unrolled: 1-line block ×4, first 2 shown]
	v_mul_f32_e32 v0, s35, v0
	v_mul_f32_e32 v1, s35, v1
	;; [unrolled: 1-line block ×4, first 2 shown]
	s_waitcnt vmcnt(0)
	global_store_dwordx4 v4, v[0:3], s[4:5]
.LBB12_80:
	s_or_b32 exec_lo, exec_lo, s6
	buffer_load_dword v0, off, s[52:55], 0 offset:8 ; 4-byte Folded Reload
	v_sub_f32_e32 v109, v160, v180
	v_sub_f32_e32 v110, v162, v181
	v_sub_f32_e32 v111, v164, v182
	v_sub_f32_e32 v112, v166, v183
	s_waitcnt vmcnt(0)
	v_sub_f32_e32 v101, v0, v152
	buffer_load_dword v0, off, s[52:55], 0 offset:12 ; 4-byte Folded Reload
	s_waitcnt vmcnt(0)
	v_sub_f32_e32 v102, v0, v154
	buffer_load_dword v0, off, s[52:55], 0 offset:16 ; 4-byte Folded Reload
	;; [unrolled: 3-line block ×3, first 2 shown]
	s_waitcnt vmcnt(0)
	v_sub_f32_e32 v104, v0, v158
	s_and_saveexec_b32 s6, s7
	s_cbranch_execz .LBB12_82
; %bb.81:
	buffer_load_dword v4, off, s[52:55], 0 offset:164 ; 4-byte Folded Reload
	v_add_f32_e32 v0, v101, v109
	v_add_f32_e32 v1, v102, v110
	v_add_f32_e32 v2, v103, v111
	v_add_f32_e32 v3, v104, v112
	v_mul_f32_e32 v0, s35, v0
	v_mul_f32_e32 v1, s35, v1
	v_mul_f32_e32 v2, s35, v2
	v_mul_f32_e32 v3, s35, v3
	s_waitcnt vmcnt(0)
	global_store_dwordx4 v4, v[0:3], s[4:5]
.LBB12_82:
	s_or_b32 exec_lo, exec_lo, s6
	v_sub_f32_e32 v85, v16, v20
	v_sub_f32_e32 v86, v17, v21
	v_sub_f32_e32 v87, v18, v22
	v_sub_f32_e32 v88, v19, v23
	v_sub_f32_e32 v93, v24, v28
	v_sub_f32_e32 v94, v25, v29
	v_sub_f32_e32 v95, v26, v30
	v_sub_f32_e32 v96, v27, v31
	s_and_saveexec_b32 s6, s12
	s_cbranch_execz .LBB12_84
; %bb.83:
	buffer_load_dword v4, off, s[52:55], 0 offset:168 ; 4-byte Folded Reload
	v_add_f32_e32 v0, v85, v93
	v_add_f32_e32 v1, v86, v94
	v_add_f32_e32 v2, v87, v95
	v_add_f32_e32 v3, v88, v96
	v_mul_f32_e32 v0, s35, v0
	v_mul_f32_e32 v1, s35, v1
	v_mul_f32_e32 v2, s35, v2
	v_mul_f32_e32 v3, s35, v3
	s_waitcnt vmcnt(0)
	global_store_dwordx4 v4, v[0:3], s[4:5]
.LBB12_84:
	s_or_b32 exec_lo, exec_lo, s6
	v_sub_f32_e32 v69, v32, v36
	v_sub_f32_e32 v70, v33, v37
	v_sub_f32_e32 v71, v34, v38
	v_sub_f32_e32 v72, v35, v39
	v_sub_f32_e32 v77, v44, v48
	v_sub_f32_e32 v78, v45, v49
	v_sub_f32_e32 v79, v46, v50
	;; [unrolled: 24-line block ×5, first 2 shown]
	v_sub_f32_e32 v23, v212, v170
	s_and_saveexec_b32 s6, s26
	s_cbranch_execz .LBB12_92
; %bb.91:
	s_clause 0x1
	buffer_load_dword v0, off, s[52:55], 0 offset:172
	buffer_load_dword v1, off, s[52:55], 0 offset:176
	v_mov_b32_e32 v5, 0
	s_waitcnt vmcnt(0)
	v_add_f32_e32 v1, v17, v21
	v_add_f32_e32 v2, v18, v22
	;; [unrolled: 1-line block ×3, first 2 shown]
	v_mul_f32_e32 v1, s35, v1
	v_mul_f32_e32 v2, s35, v2
	;; [unrolled: 1-line block ×3, first 2 shown]
	v_mov_b32_e32 v4, v0
	v_add_f32_e32 v0, v16, v20
	v_lshlrev_b64 v[4:5], 4, v[4:5]
	v_mul_f32_e32 v0, s35, v0
	v_add_co_u32 v4, vcc_lo, s4, v4
	v_add_co_ci_u32_e64 v5, null, s5, v5, vcc_lo
	global_store_dwordx4 v[4:5], v[0:3], off
.LBB12_92:
	s_or_b32 exec_lo, exec_lo, s6
	v_sub_f32_e32 v28, v174, v213
	v_sub_f32_e32 v29, v199, v214
	;; [unrolled: 1-line block ×8, first 2 shown]
	s_and_saveexec_b32 s6, s19
	s_cbranch_execz .LBB12_94
; %bb.93:
	s_clause 0x1
	buffer_load_dword v0, off, s[52:55], 0 offset:152
	buffer_load_dword v1, off, s[52:55], 0 offset:156
	v_mov_b32_e32 v5, 0
	s_waitcnt vmcnt(0)
	v_add_f32_e32 v1, v29, v37
	v_add_f32_e32 v2, v30, v38
	;; [unrolled: 1-line block ×3, first 2 shown]
	v_mul_f32_e32 v1, s35, v1
	v_mul_f32_e32 v2, s35, v2
	;; [unrolled: 1-line block ×3, first 2 shown]
	v_mov_b32_e32 v4, v0
	v_add_f32_e32 v0, v28, v36
	v_lshlrev_b64 v[4:5], 4, v[4:5]
	v_mul_f32_e32 v0, s35, v0
	v_add_co_u32 v4, vcc_lo, s4, v4
	v_add_co_ci_u32_e64 v5, null, s5, v5, vcc_lo
	global_store_dwordx4 v[4:5], v[0:3], off
.LBB12_94:
	s_or_b32 exec_lo, exec_lo, s6
	v_sub_f32_e32 v48, v172, v221
	v_sub_f32_e32 v49, v202, v222
	;; [unrolled: 1-line block ×8, first 2 shown]
	s_and_saveexec_b32 s6, s0
	s_cbranch_execnz .LBB12_112
; %bb.95:
	s_or_b32 exec_lo, exec_lo, s6
	s_and_saveexec_b32 s0, s1
	s_cbranch_execnz .LBB12_113
.LBB12_96:
	s_or_b32 exec_lo, exec_lo, s0
	s_and_saveexec_b32 s0, s2
	s_cbranch_execnz .LBB12_114
.LBB12_97:
	s_or_b32 exec_lo, exec_lo, s0
	s_and_saveexec_b32 s0, s3
	s_cbranch_execnz .LBB12_115
.LBB12_98:
	s_or_b32 exec_lo, exec_lo, s0
	s_and_saveexec_b32 s0, s34
	s_cbranch_execnz .LBB12_116
.LBB12_99:
	s_or_b32 exec_lo, exec_lo, s0
	s_and_saveexec_b32 s0, s8
	s_cbranch_execnz .LBB12_117
.LBB12_100:
	s_or_b32 exec_lo, exec_lo, s0
	s_and_saveexec_b32 s0, s9
	s_cbranch_execnz .LBB12_118
.LBB12_101:
	s_or_b32 exec_lo, exec_lo, s0
	s_and_saveexec_b32 s0, s10
	s_cbranch_execnz .LBB12_119
.LBB12_102:
	s_or_b32 exec_lo, exec_lo, s0
	s_and_saveexec_b32 s0, s11
	s_cbranch_execnz .LBB12_120
.LBB12_103:
	s_or_b32 exec_lo, exec_lo, s0
	s_and_saveexec_b32 s0, s13
	s_cbranch_execnz .LBB12_121
.LBB12_104:
	s_or_b32 exec_lo, exec_lo, s0
	s_and_saveexec_b32 s0, s14
	s_cbranch_execnz .LBB12_122
.LBB12_105:
	s_or_b32 exec_lo, exec_lo, s0
	s_and_saveexec_b32 s0, s15
	s_cbranch_execnz .LBB12_123
.LBB12_106:
	s_or_b32 exec_lo, exec_lo, s0
	s_and_saveexec_b32 s0, s16
	s_cbranch_execnz .LBB12_124
.LBB12_107:
	s_or_b32 exec_lo, exec_lo, s0
	s_and_saveexec_b32 s0, s17
	s_cbranch_execnz .LBB12_125
.LBB12_108:
	s_or_b32 exec_lo, exec_lo, s0
	s_and_saveexec_b32 s0, s18
	s_cbranch_execnz .LBB12_126
.LBB12_109:
	s_or_b32 exec_lo, exec_lo, s0
	s_and_saveexec_b32 s0, s20
	s_cbranch_execnz .LBB12_127
.LBB12_110:
	s_or_b32 exec_lo, exec_lo, s0
	s_and_saveexec_b32 s0, s21
	s_cbranch_execnz .LBB12_128
.LBB12_111:
	s_endpgm
.LBB12_112:
	s_clause 0x1
	buffer_load_dword v0, off, s[52:55], 0 offset:32
	buffer_load_dword v1, off, s[52:55], 0 offset:36
	v_mov_b32_e32 v5, 0
	s_waitcnt vmcnt(0)
	v_add_f32_e32 v1, v49, v62
	v_add_f32_e32 v2, v50, v63
	;; [unrolled: 1-line block ×3, first 2 shown]
	v_mul_f32_e32 v1, s35, v1
	v_mul_f32_e32 v2, s35, v2
	;; [unrolled: 1-line block ×3, first 2 shown]
	v_mov_b32_e32 v4, v0
	v_add_f32_e32 v0, v48, v61
	v_lshlrev_b64 v[4:5], 4, v[4:5]
	v_mul_f32_e32 v0, s35, v0
	v_add_co_u32 v4, vcc_lo, s4, v4
	v_add_co_ci_u32_e64 v5, null, s5, v5, vcc_lo
	global_store_dwordx4 v[4:5], v[0:3], off
	s_or_b32 exec_lo, exec_lo, s6
	s_and_saveexec_b32 s0, s1
	s_cbranch_execz .LBB12_96
.LBB12_113:
	s_clause 0x1
	buffer_load_dword v0, off, s[52:55], 0 offset:24
	buffer_load_dword v1, off, s[52:55], 0 offset:28
	v_mov_b32_e32 v5, 0
	s_waitcnt vmcnt(1)
	v_mov_b32_e32 v4, v0
	s_clause 0x1
	buffer_load_dword v0, off, s[52:55], 0 offset:216
	buffer_load_dword v1, off, s[52:55], 0 offset:232
	v_lshlrev_b64 v[4:5], 4, v[4:5]
	v_add_co_u32 v4, vcc_lo, s4, v4
	v_add_co_ci_u32_e64 v5, null, s5, v5, vcc_lo
	s_waitcnt vmcnt(0)
	v_sub_f32_e32 v0, v0, v1
	s_clause 0x1
	buffer_load_dword v1, off, s[52:55], 0 offset:220
	buffer_load_dword v2, off, s[52:55], 0 offset:236
	v_mul_f32_e32 v0, s35, v0
	s_waitcnt vmcnt(0)
	v_sub_f32_e32 v1, v1, v2
	s_clause 0x1
	buffer_load_dword v2, off, s[52:55], 0 offset:224
	buffer_load_dword v3, off, s[52:55], 0 offset:240
	v_mul_f32_e32 v1, s35, v1
	s_waitcnt vmcnt(0)
	v_sub_f32_e32 v2, v2, v3
	s_clause 0x1
	buffer_load_dword v3, off, s[52:55], 0 offset:228
	buffer_load_dword v6, off, s[52:55], 0 offset:244
	v_mul_f32_e32 v2, s35, v2
	s_waitcnt vmcnt(0)
	v_sub_f32_e32 v3, v3, v6
	v_mul_f32_e32 v3, s35, v3
	global_store_dwordx4 v[4:5], v[0:3], off
	s_or_b32 exec_lo, exec_lo, s0
	s_and_saveexec_b32 s0, s2
	s_cbranch_execz .LBB12_97
.LBB12_114:
	s_clause 0x1
	buffer_load_dword v0, off, s[52:55], 0 offset:48
	buffer_load_dword v1, off, s[52:55], 0 offset:52
	v_mov_b32_e32 v5, 0
	s_waitcnt vmcnt(1)
	v_mov_b32_e32 v4, v0
	s_clause 0x1
	buffer_load_dword v0, off, s[52:55], 0 offset:248
	buffer_load_dword v1, off, s[52:55], 0 offset:264
	v_lshlrev_b64 v[4:5], 4, v[4:5]
	v_add_co_u32 v4, vcc_lo, s4, v4
	v_add_co_ci_u32_e64 v5, null, s5, v5, vcc_lo
	s_waitcnt vmcnt(0)
	v_sub_f32_e32 v0, v0, v1
	s_clause 0x1
	buffer_load_dword v1, off, s[52:55], 0 offset:252
	buffer_load_dword v2, off, s[52:55], 0 offset:268
	v_mul_f32_e32 v0, s35, v0
	s_waitcnt vmcnt(0)
	v_sub_f32_e32 v1, v1, v2
	s_clause 0x1
	buffer_load_dword v2, off, s[52:55], 0 offset:256
	buffer_load_dword v3, off, s[52:55], 0 offset:272
	v_mul_f32_e32 v1, s35, v1
	;; [unrolled: 6-line block ×3, first 2 shown]
	s_waitcnt vmcnt(0)
	v_sub_f32_e32 v3, v3, v6
	v_mul_f32_e32 v3, s35, v3
	global_store_dwordx4 v[4:5], v[0:3], off
	s_or_b32 exec_lo, exec_lo, s0
	s_and_saveexec_b32 s0, s3
	s_cbranch_execz .LBB12_98
.LBB12_115:
	s_clause 0x1
	buffer_load_dword v0, off, s[52:55], 0 offset:40
	buffer_load_dword v1, off, s[52:55], 0 offset:44
	v_mov_b32_e32 v5, 0
	s_waitcnt vmcnt(0)
	v_sub_f32_e32 v1, v242, v13
	v_sub_f32_e32 v2, v243, v14
	;; [unrolled: 1-line block ×3, first 2 shown]
	v_mul_f32_e32 v1, s35, v1
	v_mul_f32_e32 v2, s35, v2
	;; [unrolled: 1-line block ×3, first 2 shown]
	v_mov_b32_e32 v4, v0
	v_sub_f32_e32 v0, v241, v12
	v_lshlrev_b64 v[4:5], 4, v[4:5]
	v_mul_f32_e32 v0, s35, v0
	v_add_co_u32 v4, vcc_lo, s4, v4
	v_add_co_ci_u32_e64 v5, null, s5, v5, vcc_lo
	global_store_dwordx4 v[4:5], v[0:3], off
	s_or_b32 exec_lo, exec_lo, s0
	s_and_saveexec_b32 s0, s34
	s_cbranch_execz .LBB12_99
.LBB12_116:
	s_clause 0x1
	buffer_load_dword v0, off, s[52:55], 0 offset:64
	buffer_load_dword v1, off, s[52:55], 0 offset:68
	v_mov_b32_e32 v5, 0
	s_waitcnt vmcnt(0)
	v_sub_f32_e32 v1, v41, v53
	v_sub_f32_e32 v2, v42, v54
	;; [unrolled: 1-line block ×3, first 2 shown]
	v_mul_f32_e32 v1, s35, v1
	v_mul_f32_e32 v2, s35, v2
	;; [unrolled: 1-line block ×3, first 2 shown]
	v_mov_b32_e32 v4, v0
	v_sub_f32_e32 v0, v40, v52
	v_lshlrev_b64 v[4:5], 4, v[4:5]
	v_mul_f32_e32 v0, s35, v0
	v_add_co_u32 v4, vcc_lo, s4, v4
	v_add_co_ci_u32_e64 v5, null, s5, v5, vcc_lo
	global_store_dwordx4 v[4:5], v[0:3], off
	s_or_b32 exec_lo, exec_lo, s0
	s_and_saveexec_b32 s0, s8
	s_cbranch_execz .LBB12_100
.LBB12_117:
	s_clause 0x1
	buffer_load_dword v0, off, s[52:55], 0 offset:56
	buffer_load_dword v1, off, s[52:55], 0 offset:60
	v_mov_b32_e32 v5, 0
	s_waitcnt vmcnt(0)
	v_sub_f32_e32 v1, v66, v74
	v_sub_f32_e32 v2, v67, v75
	;; [unrolled: 1-line block ×3, first 2 shown]
	v_mul_f32_e32 v1, s35, v1
	v_mul_f32_e32 v2, s35, v2
	;; [unrolled: 1-line block ×3, first 2 shown]
	v_mov_b32_e32 v4, v0
	v_sub_f32_e32 v0, v65, v73
	v_lshlrev_b64 v[4:5], 4, v[4:5]
	v_mul_f32_e32 v0, s35, v0
	v_add_co_u32 v4, vcc_lo, s4, v4
	v_add_co_ci_u32_e64 v5, null, s5, v5, vcc_lo
	global_store_dwordx4 v[4:5], v[0:3], off
	s_or_b32 exec_lo, exec_lo, s0
	s_and_saveexec_b32 s0, s9
	s_cbranch_execz .LBB12_101
.LBB12_118:
	s_clause 0x1
	buffer_load_dword v0, off, s[52:55], 0 offset:80
	buffer_load_dword v1, off, s[52:55], 0 offset:84
	v_mov_b32_e32 v5, 0
	s_waitcnt vmcnt(0)
	v_sub_f32_e32 v1, v82, v90
	v_sub_f32_e32 v2, v83, v91
	;; [unrolled: 1-line block ×3, first 2 shown]
	v_mul_f32_e32 v1, s35, v1
	v_mul_f32_e32 v2, s35, v2
	;; [unrolled: 1-line block ×3, first 2 shown]
	v_mov_b32_e32 v4, v0
	v_sub_f32_e32 v0, v81, v89
	v_lshlrev_b64 v[4:5], 4, v[4:5]
	v_mul_f32_e32 v0, s35, v0
	v_add_co_u32 v4, vcc_lo, s4, v4
	v_add_co_ci_u32_e64 v5, null, s5, v5, vcc_lo
	global_store_dwordx4 v[4:5], v[0:3], off
	s_or_b32 exec_lo, exec_lo, s0
	s_and_saveexec_b32 s0, s10
	s_cbranch_execz .LBB12_102
.LBB12_119:
	s_clause 0x1
	buffer_load_dword v0, off, s[52:55], 0 offset:72
	buffer_load_dword v1, off, s[52:55], 0 offset:76
	v_mov_b32_e32 v5, 0
	s_waitcnt vmcnt(0)
	v_sub_f32_e32 v1, v98, v106
	v_sub_f32_e32 v2, v99, v107
	;; [unrolled: 1-line block ×3, first 2 shown]
	v_mul_f32_e32 v1, s35, v1
	v_mul_f32_e32 v2, s35, v2
	;; [unrolled: 1-line block ×3, first 2 shown]
	v_mov_b32_e32 v4, v0
	v_sub_f32_e32 v0, v97, v105
	v_lshlrev_b64 v[4:5], 4, v[4:5]
	v_mul_f32_e32 v0, s35, v0
	v_add_co_u32 v4, vcc_lo, s4, v4
	v_add_co_ci_u32_e64 v5, null, s5, v5, vcc_lo
	global_store_dwordx4 v[4:5], v[0:3], off
	s_or_b32 exec_lo, exec_lo, s0
	s_and_saveexec_b32 s0, s11
	s_cbranch_execz .LBB12_103
.LBB12_120:
	s_clause 0x1
	buffer_load_dword v0, off, s[52:55], 0 offset:96
	buffer_load_dword v1, off, s[52:55], 0 offset:100
	v_mov_b32_e32 v5, 0
	s_waitcnt vmcnt(0)
	v_sub_f32_e32 v1, v114, v118
	v_sub_f32_e32 v2, v115, v119
	;; [unrolled: 1-line block ×3, first 2 shown]
	v_mul_f32_e32 v1, s35, v1
	v_mul_f32_e32 v2, s35, v2
	;; [unrolled: 1-line block ×3, first 2 shown]
	v_mov_b32_e32 v4, v0
	v_sub_f32_e32 v0, v113, v117
	v_lshlrev_b64 v[4:5], 4, v[4:5]
	v_mul_f32_e32 v0, s35, v0
	v_add_co_u32 v4, vcc_lo, s4, v4
	v_add_co_ci_u32_e64 v5, null, s5, v5, vcc_lo
	global_store_dwordx4 v[4:5], v[0:3], off
	s_or_b32 exec_lo, exec_lo, s0
	s_and_saveexec_b32 s0, s13
	s_cbranch_execz .LBB12_104
.LBB12_121:
	s_clause 0x1
	buffer_load_dword v0, off, s[52:55], 0 offset:88
	buffer_load_dword v1, off, s[52:55], 0 offset:92
	v_mov_b32_e32 v5, 0
	s_waitcnt vmcnt(0)
	v_sub_f32_e32 v1, v102, v110
	v_sub_f32_e32 v2, v103, v111
	;; [unrolled: 1-line block ×3, first 2 shown]
	v_mul_f32_e32 v1, s35, v1
	v_mul_f32_e32 v2, s35, v2
	;; [unrolled: 1-line block ×3, first 2 shown]
	v_mov_b32_e32 v4, v0
	v_sub_f32_e32 v0, v101, v109
	v_lshlrev_b64 v[4:5], 4, v[4:5]
	v_mul_f32_e32 v0, s35, v0
	v_add_co_u32 v4, vcc_lo, s4, v4
	v_add_co_ci_u32_e64 v5, null, s5, v5, vcc_lo
	global_store_dwordx4 v[4:5], v[0:3], off
	s_or_b32 exec_lo, exec_lo, s0
	s_and_saveexec_b32 s0, s14
	s_cbranch_execz .LBB12_105
.LBB12_122:
	s_clause 0x1
	buffer_load_dword v0, off, s[52:55], 0 offset:112
	buffer_load_dword v1, off, s[52:55], 0 offset:116
	v_mov_b32_e32 v5, 0
	s_waitcnt vmcnt(0)
	v_sub_f32_e32 v1, v86, v94
	v_sub_f32_e32 v2, v87, v95
	;; [unrolled: 1-line block ×3, first 2 shown]
	v_mul_f32_e32 v1, s35, v1
	v_mul_f32_e32 v2, s35, v2
	;; [unrolled: 1-line block ×3, first 2 shown]
	v_mov_b32_e32 v4, v0
	v_sub_f32_e32 v0, v85, v93
	v_lshlrev_b64 v[4:5], 4, v[4:5]
	v_mul_f32_e32 v0, s35, v0
	v_add_co_u32 v4, vcc_lo, s4, v4
	v_add_co_ci_u32_e64 v5, null, s5, v5, vcc_lo
	global_store_dwordx4 v[4:5], v[0:3], off
	s_or_b32 exec_lo, exec_lo, s0
	s_and_saveexec_b32 s0, s15
	s_cbranch_execz .LBB12_106
.LBB12_123:
	s_clause 0x1
	buffer_load_dword v0, off, s[52:55], 0 offset:104
	buffer_load_dword v1, off, s[52:55], 0 offset:108
	v_mov_b32_e32 v5, 0
	s_waitcnt vmcnt(0)
	v_sub_f32_e32 v1, v70, v78
	v_sub_f32_e32 v2, v71, v79
	;; [unrolled: 1-line block ×3, first 2 shown]
	v_mul_f32_e32 v1, s35, v1
	v_mul_f32_e32 v2, s35, v2
	;; [unrolled: 1-line block ×3, first 2 shown]
	v_mov_b32_e32 v4, v0
	v_sub_f32_e32 v0, v69, v77
	v_lshlrev_b64 v[4:5], 4, v[4:5]
	v_mul_f32_e32 v0, s35, v0
	v_add_co_u32 v4, vcc_lo, s4, v4
	v_add_co_ci_u32_e64 v5, null, s5, v5, vcc_lo
	global_store_dwordx4 v[4:5], v[0:3], off
	s_or_b32 exec_lo, exec_lo, s0
	s_and_saveexec_b32 s0, s16
	s_cbranch_execz .LBB12_107
.LBB12_124:
	s_clause 0x1
	buffer_load_dword v0, off, s[52:55], 0 offset:128
	buffer_load_dword v1, off, s[52:55], 0 offset:132
	v_mov_b32_e32 v5, 0
	s_waitcnt vmcnt(0)
	v_sub_f32_e32 v1, v45, v58
	v_sub_f32_e32 v2, v46, v59
	;; [unrolled: 1-line block ×3, first 2 shown]
	v_mul_f32_e32 v1, s35, v1
	v_mul_f32_e32 v2, s35, v2
	;; [unrolled: 1-line block ×3, first 2 shown]
	v_mov_b32_e32 v4, v0
	v_sub_f32_e32 v0, v44, v57
	v_lshlrev_b64 v[4:5], 4, v[4:5]
	v_mul_f32_e32 v0, s35, v0
	v_add_co_u32 v4, vcc_lo, s4, v4
	v_add_co_ci_u32_e64 v5, null, s5, v5, vcc_lo
	global_store_dwordx4 v[4:5], v[0:3], off
	s_or_b32 exec_lo, exec_lo, s0
	s_and_saveexec_b32 s0, s17
	s_cbranch_execz .LBB12_108
.LBB12_125:
	s_clause 0x1
	buffer_load_dword v0, off, s[52:55], 0 offset:120
	buffer_load_dword v1, off, s[52:55], 0 offset:124
	v_mov_b32_e32 v5, 0
	s_waitcnt vmcnt(0)
	v_sub_f32_e32 v1, v25, v33
	v_sub_f32_e32 v2, v26, v34
	;; [unrolled: 1-line block ×3, first 2 shown]
	v_mul_f32_e32 v1, s35, v1
	v_mul_f32_e32 v2, s35, v2
	;; [unrolled: 1-line block ×3, first 2 shown]
	v_mov_b32_e32 v4, v0
	v_sub_f32_e32 v0, v24, v32
	v_lshlrev_b64 v[4:5], 4, v[4:5]
	v_mul_f32_e32 v0, s35, v0
	v_add_co_u32 v4, vcc_lo, s4, v4
	v_add_co_ci_u32_e64 v5, null, s5, v5, vcc_lo
	global_store_dwordx4 v[4:5], v[0:3], off
	s_or_b32 exec_lo, exec_lo, s0
	s_and_saveexec_b32 s0, s18
	s_cbranch_execz .LBB12_109
.LBB12_126:
	s_clause 0x1
	buffer_load_dword v0, off, s[52:55], 0 offset:144
	buffer_load_dword v1, off, s[52:55], 0 offset:148
	v_mov_b32_e32 v5, 0
	s_waitcnt vmcnt(0)
	v_sub_f32_e32 v1, v17, v21
	v_sub_f32_e32 v2, v18, v22
	;; [unrolled: 1-line block ×3, first 2 shown]
	v_mul_f32_e32 v1, s35, v1
	v_mul_f32_e32 v2, s35, v2
	v_mul_f32_e32 v3, s35, v3
	v_mov_b32_e32 v4, v0
	v_sub_f32_e32 v0, v16, v20
	v_lshlrev_b64 v[4:5], 4, v[4:5]
	v_mul_f32_e32 v0, s35, v0
	v_add_co_u32 v4, vcc_lo, s4, v4
	v_add_co_ci_u32_e64 v5, null, s5, v5, vcc_lo
	global_store_dwordx4 v[4:5], v[0:3], off
	s_or_b32 exec_lo, exec_lo, s0
	s_and_saveexec_b32 s0, s20
	s_cbranch_execz .LBB12_110
.LBB12_127:
	s_clause 0x1
	buffer_load_dword v0, off, s[52:55], 0 offset:136
	buffer_load_dword v1, off, s[52:55], 0 offset:140
	v_mov_b32_e32 v5, 0
	s_waitcnt vmcnt(0)
	v_sub_f32_e32 v1, v29, v37
	v_sub_f32_e32 v2, v30, v38
	;; [unrolled: 1-line block ×3, first 2 shown]
	v_mul_f32_e32 v1, s35, v1
	v_mul_f32_e32 v2, s35, v2
	;; [unrolled: 1-line block ×3, first 2 shown]
	v_mov_b32_e32 v4, v0
	v_sub_f32_e32 v0, v28, v36
	v_lshlrev_b64 v[4:5], 4, v[4:5]
	v_mul_f32_e32 v0, s35, v0
	v_add_co_u32 v4, vcc_lo, s4, v4
	v_add_co_ci_u32_e64 v5, null, s5, v5, vcc_lo
	global_store_dwordx4 v[4:5], v[0:3], off
	s_or_b32 exec_lo, exec_lo, s0
	s_and_saveexec_b32 s0, s21
	s_cbranch_execz .LBB12_111
.LBB12_128:
	s_clause 0x1
	buffer_load_dword v0, off, s[52:55], 0
	buffer_load_dword v1, off, s[52:55], 0 offset:4
	v_mov_b32_e32 v5, 0
	s_waitcnt vmcnt(0)
	v_sub_f32_e32 v1, v49, v62
	v_sub_f32_e32 v2, v50, v63
	;; [unrolled: 1-line block ×3, first 2 shown]
	v_mul_f32_e32 v1, s35, v1
	v_mul_f32_e32 v2, s35, v2
	;; [unrolled: 1-line block ×3, first 2 shown]
	v_mov_b32_e32 v4, v0
	v_sub_f32_e32 v0, v48, v61
	v_lshlrev_b64 v[4:5], 4, v[4:5]
	v_mul_f32_e32 v0, s35, v0
	v_add_co_u32 v4, vcc_lo, s4, v4
	v_add_co_ci_u32_e64 v5, null, s5, v5, vcc_lo
	global_store_dwordx4 v[4:5], v[0:3], off
	s_endpgm
	.section	.rodata,"a",@progbits
	.p2align	6, 0x0
	.amdhsa_kernel _Z30fast_hadamard_transform_kernelI37fast_hadamard_transform_kernel_traitsILi256ELi15EfEEv18HadamardParamsBase
		.amdhsa_group_segment_fixed_size 0
		.amdhsa_private_segment_fixed_size 284
		.amdhsa_kernarg_size 312
		.amdhsa_user_sgpr_count 6
		.amdhsa_user_sgpr_private_segment_buffer 1
		.amdhsa_user_sgpr_dispatch_ptr 0
		.amdhsa_user_sgpr_queue_ptr 0
		.amdhsa_user_sgpr_kernarg_segment_ptr 1
		.amdhsa_user_sgpr_dispatch_id 0
		.amdhsa_user_sgpr_flat_scratch_init 0
		.amdhsa_user_sgpr_private_segment_size 0
		.amdhsa_wavefront_size32 1
		.amdhsa_uses_dynamic_stack 0
		.amdhsa_system_sgpr_private_segment_wavefront_offset 1
		.amdhsa_system_sgpr_workgroup_id_x 1
		.amdhsa_system_sgpr_workgroup_id_y 0
		.amdhsa_system_sgpr_workgroup_id_z 0
		.amdhsa_system_sgpr_workgroup_info 0
		.amdhsa_system_vgpr_workitem_id 0
		.amdhsa_next_free_vgpr 256
		.amdhsa_next_free_sgpr 56
		.amdhsa_reserve_vcc 1
		.amdhsa_reserve_flat_scratch 0
		.amdhsa_float_round_mode_32 0
		.amdhsa_float_round_mode_16_64 0
		.amdhsa_float_denorm_mode_32 3
		.amdhsa_float_denorm_mode_16_64 3
		.amdhsa_dx10_clamp 1
		.amdhsa_ieee_mode 1
		.amdhsa_fp16_overflow 0
		.amdhsa_workgroup_processor_mode 1
		.amdhsa_memory_ordered 1
		.amdhsa_forward_progress 1
		.amdhsa_shared_vgpr_count 0
		.amdhsa_exception_fp_ieee_invalid_op 0
		.amdhsa_exception_fp_denorm_src 0
		.amdhsa_exception_fp_ieee_div_zero 0
		.amdhsa_exception_fp_ieee_overflow 0
		.amdhsa_exception_fp_ieee_underflow 0
		.amdhsa_exception_fp_ieee_inexact 0
		.amdhsa_exception_int_div_zero 0
	.end_amdhsa_kernel
	.section	.text._Z30fast_hadamard_transform_kernelI37fast_hadamard_transform_kernel_traitsILi256ELi15EfEEv18HadamardParamsBase,"axG",@progbits,_Z30fast_hadamard_transform_kernelI37fast_hadamard_transform_kernel_traitsILi256ELi15EfEEv18HadamardParamsBase,comdat
.Lfunc_end12:
	.size	_Z30fast_hadamard_transform_kernelI37fast_hadamard_transform_kernel_traitsILi256ELi15EfEEv18HadamardParamsBase, .Lfunc_end12-_Z30fast_hadamard_transform_kernelI37fast_hadamard_transform_kernel_traitsILi256ELi15EfEEv18HadamardParamsBase
                                        ; -- End function
	.set _Z30fast_hadamard_transform_kernelI37fast_hadamard_transform_kernel_traitsILi256ELi15EfEEv18HadamardParamsBase.num_vgpr, 256
	.set _Z30fast_hadamard_transform_kernelI37fast_hadamard_transform_kernel_traitsILi256ELi15EfEEv18HadamardParamsBase.num_agpr, 0
	.set _Z30fast_hadamard_transform_kernelI37fast_hadamard_transform_kernel_traitsILi256ELi15EfEEv18HadamardParamsBase.numbered_sgpr, 56
	.set _Z30fast_hadamard_transform_kernelI37fast_hadamard_transform_kernel_traitsILi256ELi15EfEEv18HadamardParamsBase.num_named_barrier, 0
	.set _Z30fast_hadamard_transform_kernelI37fast_hadamard_transform_kernel_traitsILi256ELi15EfEEv18HadamardParamsBase.private_seg_size, 284
	.set _Z30fast_hadamard_transform_kernelI37fast_hadamard_transform_kernel_traitsILi256ELi15EfEEv18HadamardParamsBase.uses_vcc, 1
	.set _Z30fast_hadamard_transform_kernelI37fast_hadamard_transform_kernel_traitsILi256ELi15EfEEv18HadamardParamsBase.uses_flat_scratch, 0
	.set _Z30fast_hadamard_transform_kernelI37fast_hadamard_transform_kernel_traitsILi256ELi15EfEEv18HadamardParamsBase.has_dyn_sized_stack, 0
	.set _Z30fast_hadamard_transform_kernelI37fast_hadamard_transform_kernel_traitsILi256ELi15EfEEv18HadamardParamsBase.has_recursion, 0
	.set _Z30fast_hadamard_transform_kernelI37fast_hadamard_transform_kernel_traitsILi256ELi15EfEEv18HadamardParamsBase.has_indirect_call, 0
	.section	.AMDGPU.csdata,"",@progbits
; Kernel info:
; codeLenInByte = 35444
; TotalNumSgprs: 58
; NumVgprs: 256
; ScratchSize: 284
; MemoryBound: 0
; FloatMode: 240
; IeeeMode: 1
; LDSByteSize: 0 bytes/workgroup (compile time only)
; SGPRBlocks: 0
; VGPRBlocks: 31
; NumSGPRsForWavesPerEU: 58
; NumVGPRsForWavesPerEU: 256
; Occupancy: 4
; WaveLimiterHint : 0
; COMPUTE_PGM_RSRC2:SCRATCH_EN: 1
; COMPUTE_PGM_RSRC2:USER_SGPR: 6
; COMPUTE_PGM_RSRC2:TRAP_HANDLER: 0
; COMPUTE_PGM_RSRC2:TGID_X_EN: 1
; COMPUTE_PGM_RSRC2:TGID_Y_EN: 0
; COMPUTE_PGM_RSRC2:TGID_Z_EN: 0
; COMPUTE_PGM_RSRC2:TIDIG_COMP_CNT: 0
	.section	.text._Z30fast_hadamard_transform_kernelI37fast_hadamard_transform_kernel_traitsILi1ELi3E6__halfEEv18HadamardParamsBase,"axG",@progbits,_Z30fast_hadamard_transform_kernelI37fast_hadamard_transform_kernel_traitsILi1ELi3E6__halfEEv18HadamardParamsBase,comdat
	.protected	_Z30fast_hadamard_transform_kernelI37fast_hadamard_transform_kernel_traitsILi1ELi3E6__halfEEv18HadamardParamsBase ; -- Begin function _Z30fast_hadamard_transform_kernelI37fast_hadamard_transform_kernel_traitsILi1ELi3E6__halfEEv18HadamardParamsBase
	.globl	_Z30fast_hadamard_transform_kernelI37fast_hadamard_transform_kernel_traitsILi1ELi3E6__halfEEv18HadamardParamsBase
	.p2align	8
	.type	_Z30fast_hadamard_transform_kernelI37fast_hadamard_transform_kernel_traitsILi1ELi3E6__halfEEv18HadamardParamsBase,@function
_Z30fast_hadamard_transform_kernelI37fast_hadamard_transform_kernel_traitsILi1ELi3E6__halfEEv18HadamardParamsBase: ; @_Z30fast_hadamard_transform_kernelI37fast_hadamard_transform_kernel_traitsILi1ELi3E6__halfEEv18HadamardParamsBase
; %bb.0:
	s_load_dword s0, s[4:5], 0x4
	s_waitcnt lgkmcnt(0)
	s_cmp_eq_u32 s0, 0
	s_cbranch_scc1 .LBB13_2
; %bb.1:
	s_clause 0x2
	s_load_dwordx4 s[0:3], s[4:5], 0x10
	s_load_dwordx4 s[8:11], s[4:5], 0x28
	s_load_dword s7, s[4:5], 0x20
	s_ashr_i32 s4, s6, 31
	s_waitcnt lgkmcnt(0)
	s_mul_hi_u32 s5, s2, s6
	s_mul_i32 s12, s2, s4
	s_mul_i32 s3, s3, s6
	s_add_i32 s5, s5, s12
	s_mul_i32 s2, s2, s6
	s_add_i32 s3, s5, s3
	s_mul_hi_u32 s12, s0, s6
	s_lshl_b64 s[2:3], s[2:3], 1
	s_mul_i32 s13, s0, s4
	s_add_u32 s4, s10, s2
	s_mul_i32 s1, s1, s6
	s_addc_u32 s5, s11, s3
	s_add_i32 s2, s12, s13
	s_mul_i32 s0, s0, s6
	s_add_i32 s1, s2, s1
	s_lshl_b64 s[0:1], s[0:1], 1
	s_add_u32 s0, s8, s0
	s_addc_u32 s1, s9, s1
	s_load_dwordx4 s[0:3], s[0:1], 0x0
	s_waitcnt lgkmcnt(0)
	s_lshr_b32 s6, s0, 16
	s_lshr_b32 s8, s1, 16
	;; [unrolled: 1-line block ×4, first 2 shown]
	v_cvt_f32_f16_e32 v0, s0
	v_cvt_f32_f16_e32 v1, s1
	;; [unrolled: 1-line block ×8, first 2 shown]
	v_sub_f32_e32 v8, v0, v4
	v_sub_f32_e32 v9, v1, v5
	;; [unrolled: 1-line block ×4, first 2 shown]
	v_add_f32_e32 v0, v0, v4
	v_add_f32_e32 v1, v1, v5
	;; [unrolled: 1-line block ×4, first 2 shown]
	v_sub_f32_e32 v4, v8, v9
	v_sub_f32_e32 v5, v10, v11
	;; [unrolled: 1-line block ×3, first 2 shown]
	v_add_f32_e32 v0, v0, v1
	v_sub_f32_e32 v7, v2, v3
	v_add_f32_e32 v1, v2, v3
	v_add_f32_e32 v8, v8, v9
	;; [unrolled: 1-line block ×3, first 2 shown]
	v_sub_f32_e32 v10, v4, v5
	v_add_f32_e32 v4, v4, v5
	v_sub_f32_e32 v2, v6, v7
	v_add_f32_e32 v5, v6, v7
	;; [unrolled: 2-line block ×4, first 2 shown]
	v_fma_mixlo_f16 v3, s7, v2, 0
	v_fma_mixlo_f16 v2, s7, v6, 0
	;; [unrolled: 1-line block ×4, first 2 shown]
	v_mov_b32_e32 v5, 0
	v_fma_mixhi_f16 v3, s7, v10, 0
	v_fma_mixhi_f16 v2, s7, v7, 0
	;; [unrolled: 1-line block ×4, first 2 shown]
	global_store_dwordx4 v5, v[0:3], s[4:5]
.LBB13_2:
	s_endpgm
	.section	.rodata,"a",@progbits
	.p2align	6, 0x0
	.amdhsa_kernel _Z30fast_hadamard_transform_kernelI37fast_hadamard_transform_kernel_traitsILi1ELi3E6__halfEEv18HadamardParamsBase
		.amdhsa_group_segment_fixed_size 0
		.amdhsa_private_segment_fixed_size 0
		.amdhsa_kernarg_size 56
		.amdhsa_user_sgpr_count 6
		.amdhsa_user_sgpr_private_segment_buffer 1
		.amdhsa_user_sgpr_dispatch_ptr 0
		.amdhsa_user_sgpr_queue_ptr 0
		.amdhsa_user_sgpr_kernarg_segment_ptr 1
		.amdhsa_user_sgpr_dispatch_id 0
		.amdhsa_user_sgpr_flat_scratch_init 0
		.amdhsa_user_sgpr_private_segment_size 0
		.amdhsa_wavefront_size32 1
		.amdhsa_uses_dynamic_stack 0
		.amdhsa_system_sgpr_private_segment_wavefront_offset 0
		.amdhsa_system_sgpr_workgroup_id_x 1
		.amdhsa_system_sgpr_workgroup_id_y 0
		.amdhsa_system_sgpr_workgroup_id_z 0
		.amdhsa_system_sgpr_workgroup_info 0
		.amdhsa_system_vgpr_workitem_id 0
		.amdhsa_next_free_vgpr 12
		.amdhsa_next_free_sgpr 14
		.amdhsa_reserve_vcc 0
		.amdhsa_reserve_flat_scratch 0
		.amdhsa_float_round_mode_32 0
		.amdhsa_float_round_mode_16_64 0
		.amdhsa_float_denorm_mode_32 3
		.amdhsa_float_denorm_mode_16_64 3
		.amdhsa_dx10_clamp 1
		.amdhsa_ieee_mode 1
		.amdhsa_fp16_overflow 0
		.amdhsa_workgroup_processor_mode 1
		.amdhsa_memory_ordered 1
		.amdhsa_forward_progress 1
		.amdhsa_shared_vgpr_count 0
		.amdhsa_exception_fp_ieee_invalid_op 0
		.amdhsa_exception_fp_denorm_src 0
		.amdhsa_exception_fp_ieee_div_zero 0
		.amdhsa_exception_fp_ieee_overflow 0
		.amdhsa_exception_fp_ieee_underflow 0
		.amdhsa_exception_fp_ieee_inexact 0
		.amdhsa_exception_int_div_zero 0
	.end_amdhsa_kernel
	.section	.text._Z30fast_hadamard_transform_kernelI37fast_hadamard_transform_kernel_traitsILi1ELi3E6__halfEEv18HadamardParamsBase,"axG",@progbits,_Z30fast_hadamard_transform_kernelI37fast_hadamard_transform_kernel_traitsILi1ELi3E6__halfEEv18HadamardParamsBase,comdat
.Lfunc_end13:
	.size	_Z30fast_hadamard_transform_kernelI37fast_hadamard_transform_kernel_traitsILi1ELi3E6__halfEEv18HadamardParamsBase, .Lfunc_end13-_Z30fast_hadamard_transform_kernelI37fast_hadamard_transform_kernel_traitsILi1ELi3E6__halfEEv18HadamardParamsBase
                                        ; -- End function
	.set _Z30fast_hadamard_transform_kernelI37fast_hadamard_transform_kernel_traitsILi1ELi3E6__halfEEv18HadamardParamsBase.num_vgpr, 12
	.set _Z30fast_hadamard_transform_kernelI37fast_hadamard_transform_kernel_traitsILi1ELi3E6__halfEEv18HadamardParamsBase.num_agpr, 0
	.set _Z30fast_hadamard_transform_kernelI37fast_hadamard_transform_kernel_traitsILi1ELi3E6__halfEEv18HadamardParamsBase.numbered_sgpr, 14
	.set _Z30fast_hadamard_transform_kernelI37fast_hadamard_transform_kernel_traitsILi1ELi3E6__halfEEv18HadamardParamsBase.num_named_barrier, 0
	.set _Z30fast_hadamard_transform_kernelI37fast_hadamard_transform_kernel_traitsILi1ELi3E6__halfEEv18HadamardParamsBase.private_seg_size, 0
	.set _Z30fast_hadamard_transform_kernelI37fast_hadamard_transform_kernel_traitsILi1ELi3E6__halfEEv18HadamardParamsBase.uses_vcc, 0
	.set _Z30fast_hadamard_transform_kernelI37fast_hadamard_transform_kernel_traitsILi1ELi3E6__halfEEv18HadamardParamsBase.uses_flat_scratch, 0
	.set _Z30fast_hadamard_transform_kernelI37fast_hadamard_transform_kernel_traitsILi1ELi3E6__halfEEv18HadamardParamsBase.has_dyn_sized_stack, 0
	.set _Z30fast_hadamard_transform_kernelI37fast_hadamard_transform_kernel_traitsILi1ELi3E6__halfEEv18HadamardParamsBase.has_recursion, 0
	.set _Z30fast_hadamard_transform_kernelI37fast_hadamard_transform_kernel_traitsILi1ELi3E6__halfEEv18HadamardParamsBase.has_indirect_call, 0
	.section	.AMDGPU.csdata,"",@progbits
; Kernel info:
; codeLenInByte = 364
; TotalNumSgprs: 14
; NumVgprs: 12
; ScratchSize: 0
; MemoryBound: 0
; FloatMode: 240
; IeeeMode: 1
; LDSByteSize: 0 bytes/workgroup (compile time only)
; SGPRBlocks: 0
; VGPRBlocks: 1
; NumSGPRsForWavesPerEU: 14
; NumVGPRsForWavesPerEU: 12
; Occupancy: 16
; WaveLimiterHint : 0
; COMPUTE_PGM_RSRC2:SCRATCH_EN: 0
; COMPUTE_PGM_RSRC2:USER_SGPR: 6
; COMPUTE_PGM_RSRC2:TRAP_HANDLER: 0
; COMPUTE_PGM_RSRC2:TGID_X_EN: 1
; COMPUTE_PGM_RSRC2:TGID_Y_EN: 0
; COMPUTE_PGM_RSRC2:TGID_Z_EN: 0
; COMPUTE_PGM_RSRC2:TIDIG_COMP_CNT: 0
	.section	.text._Z30fast_hadamard_transform_kernelI37fast_hadamard_transform_kernel_traitsILi2ELi4E6__halfEEv18HadamardParamsBase,"axG",@progbits,_Z30fast_hadamard_transform_kernelI37fast_hadamard_transform_kernel_traitsILi2ELi4E6__halfEEv18HadamardParamsBase,comdat
	.protected	_Z30fast_hadamard_transform_kernelI37fast_hadamard_transform_kernel_traitsILi2ELi4E6__halfEEv18HadamardParamsBase ; -- Begin function _Z30fast_hadamard_transform_kernelI37fast_hadamard_transform_kernel_traitsILi2ELi4E6__halfEEv18HadamardParamsBase
	.globl	_Z30fast_hadamard_transform_kernelI37fast_hadamard_transform_kernel_traitsILi2ELi4E6__halfEEv18HadamardParamsBase
	.p2align	8
	.type	_Z30fast_hadamard_transform_kernelI37fast_hadamard_transform_kernel_traitsILi2ELi4E6__halfEEv18HadamardParamsBase,@function
_Z30fast_hadamard_transform_kernelI37fast_hadamard_transform_kernel_traitsILi2ELi4E6__halfEEv18HadamardParamsBase: ; @_Z30fast_hadamard_transform_kernelI37fast_hadamard_transform_kernel_traitsILi2ELi4E6__halfEEv18HadamardParamsBase
; %bb.0:
	s_load_dword s0, s[4:5], 0x4
	v_lshlrev_b32_e32 v9, 3, v0
	v_mov_b32_e32 v2, 0
	v_mov_b32_e32 v3, 0
	;; [unrolled: 1-line block ×7, first 2 shown]
	v_lshlrev_b32_e32 v1, 4, v0
	s_ashr_i32 s1, s6, 31
	s_waitcnt lgkmcnt(0)
	v_cmp_gt_u32_e32 vcc_lo, s0, v9
	v_mov_b32_e32 v9, 0
	s_and_saveexec_b32 s0, vcc_lo
	s_cbranch_execz .LBB14_2
; %bb.1:
	s_clause 0x1
	s_load_dwordx2 s[2:3], s[4:5], 0x10
	s_load_dwordx2 s[8:9], s[4:5], 0x28
	s_waitcnt lgkmcnt(0)
	s_mul_i32 s7, s2, s1
	s_mul_hi_u32 s10, s2, s6
	s_mul_i32 s3, s3, s6
	s_add_i32 s7, s10, s7
	s_mul_i32 s2, s2, s6
	s_add_i32 s3, s7, s3
	s_lshl_b64 s[2:3], s[2:3], 1
	s_add_u32 s2, s8, s2
	s_addc_u32 s3, s9, s3
	global_load_dwordx4 v[10:13], v1, s[2:3]
	s_waitcnt vmcnt(0)
	v_cvt_f32_f16_e32 v9, v10
	v_cvt_f32_f16_sdwa v8, v10 dst_sel:DWORD dst_unused:UNUSED_PAD src0_sel:WORD_1
	v_cvt_f32_f16_e32 v7, v11
	v_cvt_f32_f16_sdwa v6, v11 dst_sel:DWORD dst_unused:UNUSED_PAD src0_sel:WORD_1
	;; [unrolled: 2-line block ×4, first 2 shown]
.LBB14_2:
	s_or_b32 exec_lo, exec_lo, s0
	v_add_f32_e32 v10, v8, v9
	v_sub_f32_e32 v8, v9, v8
	v_add_f32_e32 v9, v6, v7
	v_sub_f32_e32 v6, v7, v6
	;; [unrolled: 2-line block ×4, first 2 shown]
	v_mbcnt_lo_u32_b32 v3, -1, 0
	v_add_f32_e32 v11, v9, v10
	v_sub_f32_e32 v10, v10, v9
	v_add_f32_e32 v9, v6, v8
	v_sub_f32_e32 v6, v8, v6
	v_xor_b32_e32 v8, 1, v3
	v_add_f32_e32 v12, v5, v7
	v_sub_f32_e32 v7, v7, v5
	v_add_f32_e32 v13, v2, v4
	v_sub_f32_e32 v2, v4, v2
	v_cmp_gt_i32_e64 s0, 32, v8
	v_sub_f32_e32 v15, v10, v7
	v_add_f32_e32 v5, v13, v9
	v_sub_f32_e32 v16, v6, v2
	v_cndmask_b32_e64 v4, v3, v8, s0
	v_add_f32_e32 v3, v12, v11
	v_sub_f32_e32 v8, v11, v12
	v_sub_f32_e32 v12, v9, v13
	v_add_f32_e32 v9, v7, v10
	v_lshlrev_b32_e32 v17, 2, v4
	v_add_f32_e32 v13, v2, v6
	ds_bpermute_b32 v4, v17, v3
	ds_bpermute_b32 v2, v17, v5
	;; [unrolled: 1-line block ×8, first 2 shown]
	s_and_saveexec_b32 s0, vcc_lo
	s_cbranch_execz .LBB14_4
; %bb.3:
	s_clause 0x2
	s_load_dwordx2 s[2:3], s[4:5], 0x18
	s_load_dwordx2 s[8:9], s[4:5], 0x30
	s_load_dword s4, s[4:5], 0x20
	v_cmp_eq_u32_e32 vcc_lo, 0, v0
	v_cndmask_b32_e64 v15, -v15, v15, vcc_lo
	v_cndmask_b32_e64 v8, -v8, v8, vcc_lo
	;; [unrolled: 1-line block ×8, first 2 shown]
	s_waitcnt lgkmcnt(0)
	v_add_f32_e32 v14, v15, v14
	v_add_f32_e32 v8, v8, v10
	;; [unrolled: 1-line block ×5, first 2 shown]
	s_mul_i32 s0, s2, s1
	s_mul_hi_u32 s1, s2, s6
	v_add_f32_e32 v11, v12, v11
	v_add_f32_e32 v7, v13, v7
	;; [unrolled: 1-line block ×3, first 2 shown]
	v_fma_mixlo_f16 v5, s4, v14, 0
	v_fma_mixlo_f16 v4, s4, v8, 0
	;; [unrolled: 1-line block ×4, first 2 shown]
	s_mul_i32 s3, s3, s6
	s_add_i32 s1, s1, s0
	s_mul_i32 s0, s2, s6
	s_add_i32 s1, s1, s3
	v_fma_mixhi_f16 v5, s4, v0, 0
	s_lshl_b64 s[0:1], s[0:1], 1
	v_fma_mixhi_f16 v4, s4, v11, 0
	v_fma_mixhi_f16 v3, s4, v7, 0
	;; [unrolled: 1-line block ×3, first 2 shown]
	s_add_u32 s0, s8, s0
	s_addc_u32 s1, s9, s1
	global_store_dwordx4 v1, v[2:5], s[0:1]
.LBB14_4:
	s_endpgm
	.section	.rodata,"a",@progbits
	.p2align	6, 0x0
	.amdhsa_kernel _Z30fast_hadamard_transform_kernelI37fast_hadamard_transform_kernel_traitsILi2ELi4E6__halfEEv18HadamardParamsBase
		.amdhsa_group_segment_fixed_size 0
		.amdhsa_private_segment_fixed_size 0
		.amdhsa_kernarg_size 56
		.amdhsa_user_sgpr_count 6
		.amdhsa_user_sgpr_private_segment_buffer 1
		.amdhsa_user_sgpr_dispatch_ptr 0
		.amdhsa_user_sgpr_queue_ptr 0
		.amdhsa_user_sgpr_kernarg_segment_ptr 1
		.amdhsa_user_sgpr_dispatch_id 0
		.amdhsa_user_sgpr_flat_scratch_init 0
		.amdhsa_user_sgpr_private_segment_size 0
		.amdhsa_wavefront_size32 1
		.amdhsa_uses_dynamic_stack 0
		.amdhsa_system_sgpr_private_segment_wavefront_offset 0
		.amdhsa_system_sgpr_workgroup_id_x 1
		.amdhsa_system_sgpr_workgroup_id_y 0
		.amdhsa_system_sgpr_workgroup_id_z 0
		.amdhsa_system_sgpr_workgroup_info 0
		.amdhsa_system_vgpr_workitem_id 0
		.amdhsa_next_free_vgpr 18
		.amdhsa_next_free_sgpr 11
		.amdhsa_reserve_vcc 1
		.amdhsa_reserve_flat_scratch 0
		.amdhsa_float_round_mode_32 0
		.amdhsa_float_round_mode_16_64 0
		.amdhsa_float_denorm_mode_32 3
		.amdhsa_float_denorm_mode_16_64 3
		.amdhsa_dx10_clamp 1
		.amdhsa_ieee_mode 1
		.amdhsa_fp16_overflow 0
		.amdhsa_workgroup_processor_mode 1
		.amdhsa_memory_ordered 1
		.amdhsa_forward_progress 1
		.amdhsa_shared_vgpr_count 0
		.amdhsa_exception_fp_ieee_invalid_op 0
		.amdhsa_exception_fp_denorm_src 0
		.amdhsa_exception_fp_ieee_div_zero 0
		.amdhsa_exception_fp_ieee_overflow 0
		.amdhsa_exception_fp_ieee_underflow 0
		.amdhsa_exception_fp_ieee_inexact 0
		.amdhsa_exception_int_div_zero 0
	.end_amdhsa_kernel
	.section	.text._Z30fast_hadamard_transform_kernelI37fast_hadamard_transform_kernel_traitsILi2ELi4E6__halfEEv18HadamardParamsBase,"axG",@progbits,_Z30fast_hadamard_transform_kernelI37fast_hadamard_transform_kernel_traitsILi2ELi4E6__halfEEv18HadamardParamsBase,comdat
.Lfunc_end14:
	.size	_Z30fast_hadamard_transform_kernelI37fast_hadamard_transform_kernel_traitsILi2ELi4E6__halfEEv18HadamardParamsBase, .Lfunc_end14-_Z30fast_hadamard_transform_kernelI37fast_hadamard_transform_kernel_traitsILi2ELi4E6__halfEEv18HadamardParamsBase
                                        ; -- End function
	.set _Z30fast_hadamard_transform_kernelI37fast_hadamard_transform_kernel_traitsILi2ELi4E6__halfEEv18HadamardParamsBase.num_vgpr, 18
	.set _Z30fast_hadamard_transform_kernelI37fast_hadamard_transform_kernel_traitsILi2ELi4E6__halfEEv18HadamardParamsBase.num_agpr, 0
	.set _Z30fast_hadamard_transform_kernelI37fast_hadamard_transform_kernel_traitsILi2ELi4E6__halfEEv18HadamardParamsBase.numbered_sgpr, 11
	.set _Z30fast_hadamard_transform_kernelI37fast_hadamard_transform_kernel_traitsILi2ELi4E6__halfEEv18HadamardParamsBase.num_named_barrier, 0
	.set _Z30fast_hadamard_transform_kernelI37fast_hadamard_transform_kernel_traitsILi2ELi4E6__halfEEv18HadamardParamsBase.private_seg_size, 0
	.set _Z30fast_hadamard_transform_kernelI37fast_hadamard_transform_kernel_traitsILi2ELi4E6__halfEEv18HadamardParamsBase.uses_vcc, 1
	.set _Z30fast_hadamard_transform_kernelI37fast_hadamard_transform_kernel_traitsILi2ELi4E6__halfEEv18HadamardParamsBase.uses_flat_scratch, 0
	.set _Z30fast_hadamard_transform_kernelI37fast_hadamard_transform_kernel_traitsILi2ELi4E6__halfEEv18HadamardParamsBase.has_dyn_sized_stack, 0
	.set _Z30fast_hadamard_transform_kernelI37fast_hadamard_transform_kernel_traitsILi2ELi4E6__halfEEv18HadamardParamsBase.has_recursion, 0
	.set _Z30fast_hadamard_transform_kernelI37fast_hadamard_transform_kernel_traitsILi2ELi4E6__halfEEv18HadamardParamsBase.has_indirect_call, 0
	.section	.AMDGPU.csdata,"",@progbits
; Kernel info:
; codeLenInByte = 636
; TotalNumSgprs: 13
; NumVgprs: 18
; ScratchSize: 0
; MemoryBound: 0
; FloatMode: 240
; IeeeMode: 1
; LDSByteSize: 0 bytes/workgroup (compile time only)
; SGPRBlocks: 0
; VGPRBlocks: 2
; NumSGPRsForWavesPerEU: 13
; NumVGPRsForWavesPerEU: 18
; Occupancy: 16
; WaveLimiterHint : 0
; COMPUTE_PGM_RSRC2:SCRATCH_EN: 0
; COMPUTE_PGM_RSRC2:USER_SGPR: 6
; COMPUTE_PGM_RSRC2:TRAP_HANDLER: 0
; COMPUTE_PGM_RSRC2:TGID_X_EN: 1
; COMPUTE_PGM_RSRC2:TGID_Y_EN: 0
; COMPUTE_PGM_RSRC2:TGID_Z_EN: 0
; COMPUTE_PGM_RSRC2:TIDIG_COMP_CNT: 0
	.section	.text._Z30fast_hadamard_transform_kernelI37fast_hadamard_transform_kernel_traitsILi4ELi5E6__halfEEv18HadamardParamsBase,"axG",@progbits,_Z30fast_hadamard_transform_kernelI37fast_hadamard_transform_kernel_traitsILi4ELi5E6__halfEEv18HadamardParamsBase,comdat
	.protected	_Z30fast_hadamard_transform_kernelI37fast_hadamard_transform_kernel_traitsILi4ELi5E6__halfEEv18HadamardParamsBase ; -- Begin function _Z30fast_hadamard_transform_kernelI37fast_hadamard_transform_kernel_traitsILi4ELi5E6__halfEEv18HadamardParamsBase
	.globl	_Z30fast_hadamard_transform_kernelI37fast_hadamard_transform_kernel_traitsILi4ELi5E6__halfEEv18HadamardParamsBase
	.p2align	8
	.type	_Z30fast_hadamard_transform_kernelI37fast_hadamard_transform_kernel_traitsILi4ELi5E6__halfEEv18HadamardParamsBase,@function
_Z30fast_hadamard_transform_kernelI37fast_hadamard_transform_kernel_traitsILi4ELi5E6__halfEEv18HadamardParamsBase: ; @_Z30fast_hadamard_transform_kernelI37fast_hadamard_transform_kernel_traitsILi4ELi5E6__halfEEv18HadamardParamsBase
; %bb.0:
	s_load_dword s0, s[4:5], 0x4
	v_lshlrev_b32_e32 v9, 3, v0
	v_mov_b32_e32 v2, 0
	v_mov_b32_e32 v3, 0
	v_mov_b32_e32 v4, 0
	v_mov_b32_e32 v5, 0
	v_mov_b32_e32 v6, 0
	v_mov_b32_e32 v7, 0
	v_mov_b32_e32 v8, 0
	v_lshlrev_b32_e32 v1, 4, v0
	s_ashr_i32 s2, s6, 31
	s_waitcnt lgkmcnt(0)
	v_cmp_gt_u32_e32 vcc_lo, s0, v9
	v_mov_b32_e32 v9, 0
	s_and_saveexec_b32 s0, vcc_lo
	s_cbranch_execz .LBB15_2
; %bb.1:
	s_clause 0x1
	s_load_dwordx2 s[8:9], s[4:5], 0x10
	s_load_dwordx2 s[10:11], s[4:5], 0x28
	s_waitcnt lgkmcnt(0)
	s_mul_i32 s1, s8, s2
	s_mul_hi_u32 s3, s8, s6
	s_mul_i32 s7, s9, s6
	s_add_i32 s1, s3, s1
	s_mul_i32 s8, s8, s6
	s_add_i32 s9, s1, s7
	s_lshl_b64 s[8:9], s[8:9], 1
	s_add_u32 s8, s10, s8
	s_addc_u32 s9, s11, s9
	global_load_dwordx4 v[10:13], v1, s[8:9]
	s_waitcnt vmcnt(0)
	v_cvt_f32_f16_e32 v9, v10
	v_cvt_f32_f16_sdwa v8, v10 dst_sel:DWORD dst_unused:UNUSED_PAD src0_sel:WORD_1
	v_cvt_f32_f16_e32 v7, v11
	v_cvt_f32_f16_sdwa v6, v11 dst_sel:DWORD dst_unused:UNUSED_PAD src0_sel:WORD_1
	;; [unrolled: 2-line block ×4, first 2 shown]
.LBB15_2:
	s_or_b32 exec_lo, exec_lo, s0
	v_mbcnt_lo_u32_b32 v11, -1, 0
	v_add_f32_e32 v10, v8, v9
	v_sub_f32_e32 v8, v9, v8
	v_add_f32_e32 v9, v6, v7
	v_sub_f32_e32 v6, v7, v6
	v_xor_b32_e32 v12, 1, v11
	v_add_f32_e32 v7, v4, v5
	v_sub_f32_e32 v4, v5, v4
	v_add_f32_e32 v5, v2, v3
	v_sub_f32_e32 v2, v3, v2
	v_cmp_gt_i32_e64 s0, 32, v12
	v_add_f32_e32 v3, v9, v10
	v_sub_f32_e32 v9, v10, v9
	v_add_f32_e32 v10, v6, v8
	v_sub_f32_e32 v6, v8, v6
	v_add_f32_e32 v8, v5, v7
	v_cndmask_b32_e64 v12, v11, v12, s0
	v_sub_f32_e32 v5, v7, v5
	v_add_f32_e32 v13, v2, v4
	v_sub_f32_e32 v2, v4, v2
	v_add_f32_e32 v4, v8, v3
	v_lshlrev_b32_e32 v7, 2, v12
	v_add_f32_e32 v14, v5, v9
	v_add_f32_e32 v12, v13, v10
	;; [unrolled: 1-line block ×3, first 2 shown]
	v_and_b32_e32 v20, 1, v0
	v_sub_f32_e32 v8, v3, v8
	ds_bpermute_b32 v18, v7, v14
	v_sub_f32_e32 v10, v10, v13
	v_sub_f32_e32 v5, v9, v5
	;; [unrolled: 1-line block ×3, first 2 shown]
	ds_bpermute_b32 v16, v7, v4
	ds_bpermute_b32 v17, v7, v12
	;; [unrolled: 1-line block ×3, first 2 shown]
	v_cmp_eq_u32_e64 s0, 0, v20
	ds_bpermute_b32 v13, v7, v8
	ds_bpermute_b32 v20, v7, v10
	;; [unrolled: 1-line block ×4, first 2 shown]
	v_cndmask_b32_e64 v3, -v12, v12, s0
	v_xor_b32_e32 v12, 2, v11
	v_cndmask_b32_e64 v2, -v4, v4, s0
	v_cndmask_b32_e64 v4, -v14, v14, s0
	;; [unrolled: 1-line block ×4, first 2 shown]
	v_cmp_gt_i32_e64 s1, 32, v12
	v_cndmask_b32_e64 v10, -v10, v10, s0
	s_waitcnt lgkmcnt(7)
	v_add_f32_e32 v6, v4, v18
	v_cndmask_b32_e64 v5, -v5, v5, s0
	v_cndmask_b32_e64 v9, -v9, v9, s0
	v_cndmask_b32_e64 v4, v11, v12, s1
	s_waitcnt lgkmcnt(6)
	v_add_f32_e32 v2, v2, v16
	s_waitcnt lgkmcnt(5)
	v_add_f32_e32 v3, v3, v17
	;; [unrolled: 2-line block ×3, first 2 shown]
	v_lshlrev_b32_e32 v17, 2, v4
	s_waitcnt lgkmcnt(3)
	v_add_f32_e32 v12, v8, v13
	s_waitcnt lgkmcnt(2)
	v_add_f32_e32 v14, v10, v20
	;; [unrolled: 2-line block ×4, first 2 shown]
	ds_bpermute_b32 v4, v17, v2
	ds_bpermute_b32 v5, v17, v3
	;; [unrolled: 1-line block ×8, first 2 shown]
	s_and_saveexec_b32 s0, vcc_lo
	s_cbranch_execz .LBB15_4
; %bb.3:
	s_load_dwordx2 s[0:1], s[4:5], 0x18
	v_and_b32_e32 v0, 2, v0
	s_clause 0x1
	s_load_dwordx2 s[8:9], s[4:5], 0x30
	s_load_dword s3, s[4:5], 0x20
	v_cmp_eq_u32_e32 vcc_lo, 0, v0
	v_cndmask_b32_e64 v15, -v15, v15, vcc_lo
	v_cndmask_b32_e64 v12, -v12, v12, vcc_lo
	;; [unrolled: 1-line block ×8, first 2 shown]
	s_waitcnt lgkmcnt(0)
	v_add_f32_e32 v13, v15, v13
	v_add_f32_e32 v10, v12, v10
	;; [unrolled: 1-line block ×4, first 2 shown]
	s_mul_i32 s2, s0, s2
	s_mul_hi_u32 s4, s0, s6
	v_add_f32_e32 v0, v0, v17
	v_add_f32_e32 v11, v14, v11
	;; [unrolled: 1-line block ×4, first 2 shown]
	v_fma_mixlo_f16 v5, s3, v13, 0
	v_fma_mixlo_f16 v4, s3, v10, 0
	;; [unrolled: 1-line block ×4, first 2 shown]
	s_mul_i32 s1, s1, s6
	s_add_i32 s2, s4, s2
	s_mul_i32 s0, s0, s6
	s_add_i32 s1, s2, s1
	v_fma_mixhi_f16 v5, s3, v0, 0
	s_lshl_b64 s[0:1], s[0:1], 1
	v_fma_mixhi_f16 v4, s3, v11, 0
	v_fma_mixhi_f16 v3, s3, v7, 0
	v_fma_mixhi_f16 v2, s3, v8, 0
	s_add_u32 s0, s8, s0
	s_addc_u32 s1, s9, s1
	global_store_dwordx4 v1, v[2:5], s[0:1]
.LBB15_4:
	s_endpgm
	.section	.rodata,"a",@progbits
	.p2align	6, 0x0
	.amdhsa_kernel _Z30fast_hadamard_transform_kernelI37fast_hadamard_transform_kernel_traitsILi4ELi5E6__halfEEv18HadamardParamsBase
		.amdhsa_group_segment_fixed_size 0
		.amdhsa_private_segment_fixed_size 0
		.amdhsa_kernarg_size 56
		.amdhsa_user_sgpr_count 6
		.amdhsa_user_sgpr_private_segment_buffer 1
		.amdhsa_user_sgpr_dispatch_ptr 0
		.amdhsa_user_sgpr_queue_ptr 0
		.amdhsa_user_sgpr_kernarg_segment_ptr 1
		.amdhsa_user_sgpr_dispatch_id 0
		.amdhsa_user_sgpr_flat_scratch_init 0
		.amdhsa_user_sgpr_private_segment_size 0
		.amdhsa_wavefront_size32 1
		.amdhsa_uses_dynamic_stack 0
		.amdhsa_system_sgpr_private_segment_wavefront_offset 0
		.amdhsa_system_sgpr_workgroup_id_x 1
		.amdhsa_system_sgpr_workgroup_id_y 0
		.amdhsa_system_sgpr_workgroup_id_z 0
		.amdhsa_system_sgpr_workgroup_info 0
		.amdhsa_system_vgpr_workitem_id 0
		.amdhsa_next_free_vgpr 23
		.amdhsa_next_free_sgpr 12
		.amdhsa_reserve_vcc 1
		.amdhsa_reserve_flat_scratch 0
		.amdhsa_float_round_mode_32 0
		.amdhsa_float_round_mode_16_64 0
		.amdhsa_float_denorm_mode_32 3
		.amdhsa_float_denorm_mode_16_64 3
		.amdhsa_dx10_clamp 1
		.amdhsa_ieee_mode 1
		.amdhsa_fp16_overflow 0
		.amdhsa_workgroup_processor_mode 1
		.amdhsa_memory_ordered 1
		.amdhsa_forward_progress 1
		.amdhsa_shared_vgpr_count 0
		.amdhsa_exception_fp_ieee_invalid_op 0
		.amdhsa_exception_fp_denorm_src 0
		.amdhsa_exception_fp_ieee_div_zero 0
		.amdhsa_exception_fp_ieee_overflow 0
		.amdhsa_exception_fp_ieee_underflow 0
		.amdhsa_exception_fp_ieee_inexact 0
		.amdhsa_exception_int_div_zero 0
	.end_amdhsa_kernel
	.section	.text._Z30fast_hadamard_transform_kernelI37fast_hadamard_transform_kernel_traitsILi4ELi5E6__halfEEv18HadamardParamsBase,"axG",@progbits,_Z30fast_hadamard_transform_kernelI37fast_hadamard_transform_kernel_traitsILi4ELi5E6__halfEEv18HadamardParamsBase,comdat
.Lfunc_end15:
	.size	_Z30fast_hadamard_transform_kernelI37fast_hadamard_transform_kernel_traitsILi4ELi5E6__halfEEv18HadamardParamsBase, .Lfunc_end15-_Z30fast_hadamard_transform_kernelI37fast_hadamard_transform_kernel_traitsILi4ELi5E6__halfEEv18HadamardParamsBase
                                        ; -- End function
	.set _Z30fast_hadamard_transform_kernelI37fast_hadamard_transform_kernel_traitsILi4ELi5E6__halfEEv18HadamardParamsBase.num_vgpr, 23
	.set _Z30fast_hadamard_transform_kernelI37fast_hadamard_transform_kernel_traitsILi4ELi5E6__halfEEv18HadamardParamsBase.num_agpr, 0
	.set _Z30fast_hadamard_transform_kernelI37fast_hadamard_transform_kernel_traitsILi4ELi5E6__halfEEv18HadamardParamsBase.numbered_sgpr, 12
	.set _Z30fast_hadamard_transform_kernelI37fast_hadamard_transform_kernel_traitsILi4ELi5E6__halfEEv18HadamardParamsBase.num_named_barrier, 0
	.set _Z30fast_hadamard_transform_kernelI37fast_hadamard_transform_kernel_traitsILi4ELi5E6__halfEEv18HadamardParamsBase.private_seg_size, 0
	.set _Z30fast_hadamard_transform_kernelI37fast_hadamard_transform_kernel_traitsILi4ELi5E6__halfEEv18HadamardParamsBase.uses_vcc, 1
	.set _Z30fast_hadamard_transform_kernelI37fast_hadamard_transform_kernel_traitsILi4ELi5E6__halfEEv18HadamardParamsBase.uses_flat_scratch, 0
	.set _Z30fast_hadamard_transform_kernelI37fast_hadamard_transform_kernel_traitsILi4ELi5E6__halfEEv18HadamardParamsBase.has_dyn_sized_stack, 0
	.set _Z30fast_hadamard_transform_kernelI37fast_hadamard_transform_kernel_traitsILi4ELi5E6__halfEEv18HadamardParamsBase.has_recursion, 0
	.set _Z30fast_hadamard_transform_kernelI37fast_hadamard_transform_kernel_traitsILi4ELi5E6__halfEEv18HadamardParamsBase.has_indirect_call, 0
	.section	.AMDGPU.csdata,"",@progbits
; Kernel info:
; codeLenInByte = 868
; TotalNumSgprs: 14
; NumVgprs: 23
; ScratchSize: 0
; MemoryBound: 0
; FloatMode: 240
; IeeeMode: 1
; LDSByteSize: 0 bytes/workgroup (compile time only)
; SGPRBlocks: 0
; VGPRBlocks: 2
; NumSGPRsForWavesPerEU: 14
; NumVGPRsForWavesPerEU: 23
; Occupancy: 16
; WaveLimiterHint : 0
; COMPUTE_PGM_RSRC2:SCRATCH_EN: 0
; COMPUTE_PGM_RSRC2:USER_SGPR: 6
; COMPUTE_PGM_RSRC2:TRAP_HANDLER: 0
; COMPUTE_PGM_RSRC2:TGID_X_EN: 1
; COMPUTE_PGM_RSRC2:TGID_Y_EN: 0
; COMPUTE_PGM_RSRC2:TGID_Z_EN: 0
; COMPUTE_PGM_RSRC2:TIDIG_COMP_CNT: 0
	.section	.text._Z30fast_hadamard_transform_kernelI37fast_hadamard_transform_kernel_traitsILi8ELi6E6__halfEEv18HadamardParamsBase,"axG",@progbits,_Z30fast_hadamard_transform_kernelI37fast_hadamard_transform_kernel_traitsILi8ELi6E6__halfEEv18HadamardParamsBase,comdat
	.protected	_Z30fast_hadamard_transform_kernelI37fast_hadamard_transform_kernel_traitsILi8ELi6E6__halfEEv18HadamardParamsBase ; -- Begin function _Z30fast_hadamard_transform_kernelI37fast_hadamard_transform_kernel_traitsILi8ELi6E6__halfEEv18HadamardParamsBase
	.globl	_Z30fast_hadamard_transform_kernelI37fast_hadamard_transform_kernel_traitsILi8ELi6E6__halfEEv18HadamardParamsBase
	.p2align	8
	.type	_Z30fast_hadamard_transform_kernelI37fast_hadamard_transform_kernel_traitsILi8ELi6E6__halfEEv18HadamardParamsBase,@function
_Z30fast_hadamard_transform_kernelI37fast_hadamard_transform_kernel_traitsILi8ELi6E6__halfEEv18HadamardParamsBase: ; @_Z30fast_hadamard_transform_kernelI37fast_hadamard_transform_kernel_traitsILi8ELi6E6__halfEEv18HadamardParamsBase
; %bb.0:
	s_load_dword s0, s[4:5], 0x4
	v_lshlrev_b32_e32 v9, 3, v0
	v_mov_b32_e32 v2, 0
	v_mov_b32_e32 v3, 0
	;; [unrolled: 1-line block ×7, first 2 shown]
	v_lshlrev_b32_e32 v1, 4, v0
	s_ashr_i32 s2, s6, 31
	s_waitcnt lgkmcnt(0)
	v_cmp_gt_u32_e32 vcc_lo, s0, v9
	v_mov_b32_e32 v9, 0
	s_and_saveexec_b32 s0, vcc_lo
	s_cbranch_execz .LBB16_2
; %bb.1:
	s_clause 0x1
	s_load_dwordx2 s[8:9], s[4:5], 0x10
	s_load_dwordx2 s[10:11], s[4:5], 0x28
	s_waitcnt lgkmcnt(0)
	s_mul_i32 s1, s8, s2
	s_mul_hi_u32 s3, s8, s6
	s_mul_i32 s7, s9, s6
	s_add_i32 s1, s3, s1
	s_mul_i32 s8, s8, s6
	s_add_i32 s9, s1, s7
	s_lshl_b64 s[8:9], s[8:9], 1
	s_add_u32 s8, s10, s8
	s_addc_u32 s9, s11, s9
	global_load_dwordx4 v[10:13], v1, s[8:9]
	s_waitcnt vmcnt(0)
	v_cvt_f32_f16_e32 v9, v10
	v_cvt_f32_f16_sdwa v8, v10 dst_sel:DWORD dst_unused:UNUSED_PAD src0_sel:WORD_1
	v_cvt_f32_f16_e32 v7, v11
	v_cvt_f32_f16_sdwa v6, v11 dst_sel:DWORD dst_unused:UNUSED_PAD src0_sel:WORD_1
	;; [unrolled: 2-line block ×4, first 2 shown]
.LBB16_2:
	s_or_b32 exec_lo, exec_lo, s0
	v_mbcnt_lo_u32_b32 v11, -1, 0
	v_add_f32_e32 v10, v8, v9
	v_sub_f32_e32 v8, v9, v8
	v_add_f32_e32 v9, v6, v7
	v_sub_f32_e32 v6, v7, v6
	v_xor_b32_e32 v12, 1, v11
	v_add_f32_e32 v7, v4, v5
	v_sub_f32_e32 v4, v5, v4
	v_add_f32_e32 v5, v2, v3
	v_sub_f32_e32 v2, v3, v2
	v_cmp_gt_i32_e64 s0, 32, v12
	v_add_f32_e32 v3, v9, v10
	v_sub_f32_e32 v9, v10, v9
	v_add_f32_e32 v10, v6, v8
	v_sub_f32_e32 v6, v8, v6
	v_add_f32_e32 v8, v5, v7
	v_cndmask_b32_e64 v12, v11, v12, s0
	v_sub_f32_e32 v5, v7, v5
	v_add_f32_e32 v13, v2, v4
	v_sub_f32_e32 v2, v4, v2
	v_and_b32_e32 v16, 1, v0
	v_lshlrev_b32_e32 v7, 2, v12
	v_add_f32_e32 v14, v5, v9
	v_add_f32_e32 v4, v8, v3
	v_add_f32_e32 v12, v13, v10
	v_add_f32_e32 v15, v2, v6
	v_sub_f32_e32 v3, v3, v8
	ds_bpermute_b32 v19, v7, v14
	v_cmp_eq_u32_e64 s0, 0, v16
	v_sub_f32_e32 v10, v10, v13
	v_sub_f32_e32 v5, v9, v5
	;; [unrolled: 1-line block ×3, first 2 shown]
	ds_bpermute_b32 v17, v7, v4
	ds_bpermute_b32 v18, v7, v12
	;; [unrolled: 1-line block ×3, first 2 shown]
	v_cndmask_b32_e64 v6, -v12, v12, s0
	v_cndmask_b32_e64 v9, -v14, v14, s0
	v_xor_b32_e32 v12, 2, v11
	ds_bpermute_b32 v13, v7, v3
	ds_bpermute_b32 v14, v7, v10
	;; [unrolled: 1-line block ×4, first 2 shown]
	v_cmp_gt_i32_e64 s1, 32, v12
	v_cndmask_b32_e64 v4, -v4, v4, s0
	v_cndmask_b32_e64 v15, -v15, v15, s0
	;; [unrolled: 1-line block ×4, first 2 shown]
	v_cndmask_b32_e64 v12, v11, v12, s1
	s_waitcnt lgkmcnt(7)
	v_add_f32_e32 v9, v9, v19
	v_cndmask_b32_e64 v5, -v5, v5, s0
	v_cndmask_b32_e64 v2, -v2, v2, s0
	v_and_b32_e32 v20, 2, v0
	v_lshlrev_b32_e32 v12, 2, v12
	s_waitcnt lgkmcnt(6)
	v_add_f32_e32 v4, v4, v17
	s_waitcnt lgkmcnt(5)
	v_add_f32_e32 v6, v6, v18
	s_waitcnt lgkmcnt(4)
	v_add_f32_e32 v8, v15, v8
	v_cmp_eq_u32_e64 s0, 0, v20
	ds_bpermute_b32 v18, v12, v9
	s_waitcnt lgkmcnt(4)
	v_add_f32_e32 v13, v3, v13
	s_waitcnt lgkmcnt(3)
	v_add_f32_e32 v10, v10, v14
	;; [unrolled: 2-line block ×4, first 2 shown]
	ds_bpermute_b32 v15, v12, v4
	ds_bpermute_b32 v17, v12, v6
	;; [unrolled: 1-line block ×7, first 2 shown]
	v_cndmask_b32_e64 v7, -v8, v8, s0
	v_xor_b32_e32 v8, 4, v11
	v_cndmask_b32_e64 v2, -v4, v4, s0
	v_cndmask_b32_e64 v4, -v9, v9, s0
	;; [unrolled: 1-line block ×4, first 2 shown]
	v_cmp_gt_i32_e64 s1, 32, v8
	v_cndmask_b32_e64 v5, -v5, v5, s0
	s_waitcnt lgkmcnt(7)
	v_add_f32_e32 v6, v4, v18
	v_cndmask_b32_e64 v10, -v14, v14, s0
	v_cndmask_b32_e64 v4, v11, v8, s1
	v_cndmask_b32_e64 v8, -v13, v13, s0
	s_waitcnt lgkmcnt(6)
	v_add_f32_e32 v2, v2, v15
	s_waitcnt lgkmcnt(5)
	v_add_f32_e32 v3, v3, v17
	;; [unrolled: 2-line block ×3, first 2 shown]
	v_lshlrev_b32_e32 v17, 2, v4
	s_waitcnt lgkmcnt(3)
	v_add_f32_e32 v12, v8, v16
	s_waitcnt lgkmcnt(2)
	v_add_f32_e32 v14, v9, v20
	;; [unrolled: 2-line block ×4, first 2 shown]
	ds_bpermute_b32 v4, v17, v2
	ds_bpermute_b32 v5, v17, v3
	;; [unrolled: 1-line block ×8, first 2 shown]
	s_and_saveexec_b32 s0, vcc_lo
	s_cbranch_execz .LBB16_4
; %bb.3:
	s_load_dwordx2 s[0:1], s[4:5], 0x18
	v_and_b32_e32 v0, 4, v0
	s_clause 0x1
	s_load_dwordx2 s[8:9], s[4:5], 0x30
	s_load_dword s3, s[4:5], 0x20
	v_cmp_eq_u32_e32 vcc_lo, 0, v0
	v_cndmask_b32_e64 v15, -v15, v15, vcc_lo
	v_cndmask_b32_e64 v12, -v12, v12, vcc_lo
	;; [unrolled: 1-line block ×8, first 2 shown]
	s_waitcnt lgkmcnt(0)
	v_add_f32_e32 v13, v15, v13
	v_add_f32_e32 v10, v12, v10
	;; [unrolled: 1-line block ×4, first 2 shown]
	s_mul_i32 s2, s0, s2
	s_mul_hi_u32 s4, s0, s6
	v_add_f32_e32 v0, v0, v17
	v_add_f32_e32 v11, v14, v11
	v_add_f32_e32 v7, v7, v9
	v_add_f32_e32 v8, v3, v5
	v_fma_mixlo_f16 v5, s3, v13, 0
	v_fma_mixlo_f16 v4, s3, v10, 0
	;; [unrolled: 1-line block ×4, first 2 shown]
	s_mul_i32 s1, s1, s6
	s_add_i32 s2, s4, s2
	s_mul_i32 s0, s0, s6
	s_add_i32 s1, s2, s1
	v_fma_mixhi_f16 v5, s3, v0, 0
	s_lshl_b64 s[0:1], s[0:1], 1
	v_fma_mixhi_f16 v4, s3, v11, 0
	v_fma_mixhi_f16 v3, s3, v7, 0
	;; [unrolled: 1-line block ×3, first 2 shown]
	s_add_u32 s0, s8, s0
	s_addc_u32 s1, s9, s1
	global_store_dwordx4 v1, v[2:5], s[0:1]
.LBB16_4:
	s_endpgm
	.section	.rodata,"a",@progbits
	.p2align	6, 0x0
	.amdhsa_kernel _Z30fast_hadamard_transform_kernelI37fast_hadamard_transform_kernel_traitsILi8ELi6E6__halfEEv18HadamardParamsBase
		.amdhsa_group_segment_fixed_size 0
		.amdhsa_private_segment_fixed_size 0
		.amdhsa_kernarg_size 56
		.amdhsa_user_sgpr_count 6
		.amdhsa_user_sgpr_private_segment_buffer 1
		.amdhsa_user_sgpr_dispatch_ptr 0
		.amdhsa_user_sgpr_queue_ptr 0
		.amdhsa_user_sgpr_kernarg_segment_ptr 1
		.amdhsa_user_sgpr_dispatch_id 0
		.amdhsa_user_sgpr_flat_scratch_init 0
		.amdhsa_user_sgpr_private_segment_size 0
		.amdhsa_wavefront_size32 1
		.amdhsa_uses_dynamic_stack 0
		.amdhsa_system_sgpr_private_segment_wavefront_offset 0
		.amdhsa_system_sgpr_workgroup_id_x 1
		.amdhsa_system_sgpr_workgroup_id_y 0
		.amdhsa_system_sgpr_workgroup_id_z 0
		.amdhsa_system_sgpr_workgroup_info 0
		.amdhsa_system_vgpr_workitem_id 0
		.amdhsa_next_free_vgpr 23
		.amdhsa_next_free_sgpr 12
		.amdhsa_reserve_vcc 1
		.amdhsa_reserve_flat_scratch 0
		.amdhsa_float_round_mode_32 0
		.amdhsa_float_round_mode_16_64 0
		.amdhsa_float_denorm_mode_32 3
		.amdhsa_float_denorm_mode_16_64 3
		.amdhsa_dx10_clamp 1
		.amdhsa_ieee_mode 1
		.amdhsa_fp16_overflow 0
		.amdhsa_workgroup_processor_mode 1
		.amdhsa_memory_ordered 1
		.amdhsa_forward_progress 1
		.amdhsa_shared_vgpr_count 0
		.amdhsa_exception_fp_ieee_invalid_op 0
		.amdhsa_exception_fp_denorm_src 0
		.amdhsa_exception_fp_ieee_div_zero 0
		.amdhsa_exception_fp_ieee_overflow 0
		.amdhsa_exception_fp_ieee_underflow 0
		.amdhsa_exception_fp_ieee_inexact 0
		.amdhsa_exception_int_div_zero 0
	.end_amdhsa_kernel
	.section	.text._Z30fast_hadamard_transform_kernelI37fast_hadamard_transform_kernel_traitsILi8ELi6E6__halfEEv18HadamardParamsBase,"axG",@progbits,_Z30fast_hadamard_transform_kernelI37fast_hadamard_transform_kernel_traitsILi8ELi6E6__halfEEv18HadamardParamsBase,comdat
.Lfunc_end16:
	.size	_Z30fast_hadamard_transform_kernelI37fast_hadamard_transform_kernel_traitsILi8ELi6E6__halfEEv18HadamardParamsBase, .Lfunc_end16-_Z30fast_hadamard_transform_kernelI37fast_hadamard_transform_kernel_traitsILi8ELi6E6__halfEEv18HadamardParamsBase
                                        ; -- End function
	.set _Z30fast_hadamard_transform_kernelI37fast_hadamard_transform_kernel_traitsILi8ELi6E6__halfEEv18HadamardParamsBase.num_vgpr, 23
	.set _Z30fast_hadamard_transform_kernelI37fast_hadamard_transform_kernel_traitsILi8ELi6E6__halfEEv18HadamardParamsBase.num_agpr, 0
	.set _Z30fast_hadamard_transform_kernelI37fast_hadamard_transform_kernel_traitsILi8ELi6E6__halfEEv18HadamardParamsBase.numbered_sgpr, 12
	.set _Z30fast_hadamard_transform_kernelI37fast_hadamard_transform_kernel_traitsILi8ELi6E6__halfEEv18HadamardParamsBase.num_named_barrier, 0
	.set _Z30fast_hadamard_transform_kernelI37fast_hadamard_transform_kernel_traitsILi8ELi6E6__halfEEv18HadamardParamsBase.private_seg_size, 0
	.set _Z30fast_hadamard_transform_kernelI37fast_hadamard_transform_kernel_traitsILi8ELi6E6__halfEEv18HadamardParamsBase.uses_vcc, 1
	.set _Z30fast_hadamard_transform_kernelI37fast_hadamard_transform_kernel_traitsILi8ELi6E6__halfEEv18HadamardParamsBase.uses_flat_scratch, 0
	.set _Z30fast_hadamard_transform_kernelI37fast_hadamard_transform_kernel_traitsILi8ELi6E6__halfEEv18HadamardParamsBase.has_dyn_sized_stack, 0
	.set _Z30fast_hadamard_transform_kernelI37fast_hadamard_transform_kernel_traitsILi8ELi6E6__halfEEv18HadamardParamsBase.has_recursion, 0
	.set _Z30fast_hadamard_transform_kernelI37fast_hadamard_transform_kernel_traitsILi8ELi6E6__halfEEv18HadamardParamsBase.has_indirect_call, 0
	.section	.AMDGPU.csdata,"",@progbits
; Kernel info:
; codeLenInByte = 1096
; TotalNumSgprs: 14
; NumVgprs: 23
; ScratchSize: 0
; MemoryBound: 0
; FloatMode: 240
; IeeeMode: 1
; LDSByteSize: 0 bytes/workgroup (compile time only)
; SGPRBlocks: 0
; VGPRBlocks: 2
; NumSGPRsForWavesPerEU: 14
; NumVGPRsForWavesPerEU: 23
; Occupancy: 16
; WaveLimiterHint : 0
; COMPUTE_PGM_RSRC2:SCRATCH_EN: 0
; COMPUTE_PGM_RSRC2:USER_SGPR: 6
; COMPUTE_PGM_RSRC2:TRAP_HANDLER: 0
; COMPUTE_PGM_RSRC2:TGID_X_EN: 1
; COMPUTE_PGM_RSRC2:TGID_Y_EN: 0
; COMPUTE_PGM_RSRC2:TGID_Z_EN: 0
; COMPUTE_PGM_RSRC2:TIDIG_COMP_CNT: 0
	.section	.text._Z30fast_hadamard_transform_kernelI37fast_hadamard_transform_kernel_traitsILi16ELi7E6__halfEEv18HadamardParamsBase,"axG",@progbits,_Z30fast_hadamard_transform_kernelI37fast_hadamard_transform_kernel_traitsILi16ELi7E6__halfEEv18HadamardParamsBase,comdat
	.protected	_Z30fast_hadamard_transform_kernelI37fast_hadamard_transform_kernel_traitsILi16ELi7E6__halfEEv18HadamardParamsBase ; -- Begin function _Z30fast_hadamard_transform_kernelI37fast_hadamard_transform_kernel_traitsILi16ELi7E6__halfEEv18HadamardParamsBase
	.globl	_Z30fast_hadamard_transform_kernelI37fast_hadamard_transform_kernel_traitsILi16ELi7E6__halfEEv18HadamardParamsBase
	.p2align	8
	.type	_Z30fast_hadamard_transform_kernelI37fast_hadamard_transform_kernel_traitsILi16ELi7E6__halfEEv18HadamardParamsBase,@function
_Z30fast_hadamard_transform_kernelI37fast_hadamard_transform_kernel_traitsILi16ELi7E6__halfEEv18HadamardParamsBase: ; @_Z30fast_hadamard_transform_kernelI37fast_hadamard_transform_kernel_traitsILi16ELi7E6__halfEEv18HadamardParamsBase
; %bb.0:
	s_load_dword s0, s[4:5], 0x4
	v_lshlrev_b32_e32 v9, 3, v0
	v_mov_b32_e32 v2, 0
	v_mov_b32_e32 v3, 0
	;; [unrolled: 1-line block ×7, first 2 shown]
	v_lshlrev_b32_e32 v1, 4, v0
	s_ashr_i32 s2, s6, 31
	s_waitcnt lgkmcnt(0)
	v_cmp_gt_u32_e32 vcc_lo, s0, v9
	v_mov_b32_e32 v9, 0
	s_and_saveexec_b32 s0, vcc_lo
	s_cbranch_execz .LBB17_2
; %bb.1:
	s_clause 0x1
	s_load_dwordx2 s[8:9], s[4:5], 0x10
	s_load_dwordx2 s[10:11], s[4:5], 0x28
	s_waitcnt lgkmcnt(0)
	s_mul_i32 s1, s8, s2
	s_mul_hi_u32 s3, s8, s6
	s_mul_i32 s7, s9, s6
	s_add_i32 s1, s3, s1
	s_mul_i32 s8, s8, s6
	s_add_i32 s9, s1, s7
	s_lshl_b64 s[8:9], s[8:9], 1
	s_add_u32 s8, s10, s8
	s_addc_u32 s9, s11, s9
	global_load_dwordx4 v[10:13], v1, s[8:9]
	s_waitcnt vmcnt(0)
	v_cvt_f32_f16_e32 v9, v10
	v_cvt_f32_f16_sdwa v8, v10 dst_sel:DWORD dst_unused:UNUSED_PAD src0_sel:WORD_1
	v_cvt_f32_f16_e32 v7, v11
	v_cvt_f32_f16_sdwa v6, v11 dst_sel:DWORD dst_unused:UNUSED_PAD src0_sel:WORD_1
	;; [unrolled: 2-line block ×4, first 2 shown]
.LBB17_2:
	s_or_b32 exec_lo, exec_lo, s0
	v_mbcnt_lo_u32_b32 v11, -1, 0
	v_add_f32_e32 v10, v8, v9
	v_sub_f32_e32 v8, v9, v8
	v_add_f32_e32 v9, v6, v7
	v_add_f32_e32 v12, v4, v5
	v_xor_b32_e32 v14, 1, v11
	v_add_f32_e32 v13, v2, v3
	v_sub_f32_e32 v6, v7, v6
	v_sub_f32_e32 v4, v5, v4
	v_add_f32_e32 v5, v9, v10
	v_cmp_gt_i32_e64 s0, 32, v14
	v_add_f32_e32 v7, v13, v12
	v_sub_f32_e32 v2, v3, v2
	v_sub_f32_e32 v3, v10, v9
	v_add_f32_e32 v9, v6, v8
	v_cndmask_b32_e64 v14, v11, v14, s0
	v_add_f32_e32 v10, v7, v5
	v_sub_f32_e32 v6, v8, v6
	v_sub_f32_e32 v8, v12, v13
	v_add_f32_e32 v12, v2, v4
	v_lshlrev_b32_e32 v14, 2, v14
	v_sub_f32_e32 v2, v4, v2
	v_and_b32_e32 v17, 1, v0
	v_add_f32_e32 v15, v8, v3
	v_add_f32_e32 v13, v12, v9
	ds_bpermute_b32 v4, v14, v10
	v_add_f32_e32 v16, v2, v6
	v_sub_f32_e32 v5, v5, v7
	ds_bpermute_b32 v18, v14, v15
	ds_bpermute_b32 v7, v14, v13
	v_cmp_eq_u32_e64 s0, 0, v17
	ds_bpermute_b32 v19, v14, v16
	v_sub_f32_e32 v9, v9, v12
	v_sub_f32_e32 v3, v3, v8
	;; [unrolled: 1-line block ×3, first 2 shown]
	v_xor_b32_e32 v20, 2, v11
	ds_bpermute_b32 v21, v14, v5
	v_cndmask_b32_e64 v6, -v13, v13, s0
	ds_bpermute_b32 v12, v14, v9
	ds_bpermute_b32 v13, v14, v3
	;; [unrolled: 1-line block ×3, first 2 shown]
	v_cndmask_b32_e64 v10, -v10, v10, s0
	v_cmp_gt_i32_e64 s1, 32, v20
	v_cndmask_b32_e64 v8, -v15, v15, s0
	v_cndmask_b32_e64 v5, -v5, v5, s0
	;; [unrolled: 1-line block ×3, first 2 shown]
	s_waitcnt lgkmcnt(7)
	v_add_f32_e32 v4, v10, v4
	v_cndmask_b32_e64 v10, -v16, v16, s0
	v_cndmask_b32_e64 v15, v11, v20, s1
	s_waitcnt lgkmcnt(5)
	v_add_f32_e32 v6, v6, v7
	v_add_f32_e32 v7, v8, v18
	v_cndmask_b32_e64 v3, -v3, v3, s0
	s_waitcnt lgkmcnt(4)
	v_add_f32_e32 v8, v10, v19
	v_lshlrev_b32_e32 v10, 2, v15
	v_cndmask_b32_e64 v2, -v2, v2, s0
	v_and_b32_e32 v15, 2, v0
	s_waitcnt lgkmcnt(3)
	v_add_f32_e32 v5, v5, v21
	v_and_b32_e32 v20, 4, v0
	ds_bpermute_b32 v18, v10, v7
	s_waitcnt lgkmcnt(3)
	v_add_f32_e32 v9, v9, v12
	s_waitcnt lgkmcnt(2)
	v_add_f32_e32 v3, v3, v13
	;; [unrolled: 2-line block ×3, first 2 shown]
	ds_bpermute_b32 v16, v10, v4
	ds_bpermute_b32 v17, v10, v6
	;; [unrolled: 1-line block ×3, first 2 shown]
	v_cmp_eq_u32_e64 s0, 0, v15
	v_xor_b32_e32 v12, 4, v11
	ds_bpermute_b32 v13, v10, v5
	ds_bpermute_b32 v14, v10, v9
	;; [unrolled: 1-line block ×4, first 2 shown]
	v_cmp_gt_i32_e64 s1, 32, v12
	v_cndmask_b32_e64 v7, -v7, v7, s0
	v_cndmask_b32_e64 v4, -v4, v4, s0
	;; [unrolled: 1-line block ×4, first 2 shown]
	v_cndmask_b32_e64 v12, v11, v12, s1
	v_cndmask_b32_e64 v5, -v5, v5, s0
	s_waitcnt lgkmcnt(7)
	v_add_f32_e32 v7, v7, v18
	v_cndmask_b32_e64 v9, -v9, v9, s0
	v_cndmask_b32_e64 v3, -v3, v3, s0
	v_lshlrev_b32_e32 v12, 2, v12
	v_cndmask_b32_e64 v2, -v2, v2, s0
	s_waitcnt lgkmcnt(6)
	v_add_f32_e32 v4, v4, v16
	s_waitcnt lgkmcnt(5)
	v_add_f32_e32 v6, v6, v17
	;; [unrolled: 2-line block ×3, first 2 shown]
	ds_bpermute_b32 v18, v12, v7
	s_waitcnt lgkmcnt(4)
	v_add_f32_e32 v5, v5, v13
	s_waitcnt lgkmcnt(3)
	v_add_f32_e32 v9, v9, v14
	;; [unrolled: 2-line block ×4, first 2 shown]
	ds_bpermute_b32 v16, v12, v4
	ds_bpermute_b32 v17, v12, v6
	;; [unrolled: 1-line block ×3, first 2 shown]
	v_cmp_eq_u32_e64 s0, 0, v20
	ds_bpermute_b32 v14, v12, v5
	ds_bpermute_b32 v15, v12, v9
	;; [unrolled: 1-line block ×4, first 2 shown]
	v_cndmask_b32_e64 v2, -v4, v4, s0
	v_cndmask_b32_e64 v4, -v7, v7, s0
	;; [unrolled: 1-line block ×3, first 2 shown]
	v_xor_b32_e32 v8, 8, v11
	v_cndmask_b32_e64 v3, -v6, v6, s0
	v_cndmask_b32_e64 v5, -v5, v5, s0
	;; [unrolled: 1-line block ×3, first 2 shown]
	s_waitcnt lgkmcnt(7)
	v_add_f32_e32 v6, v4, v18
	v_cmp_gt_i32_e64 s1, 32, v8
	s_waitcnt lgkmcnt(6)
	v_add_f32_e32 v2, v2, v16
	v_cndmask_b32_e64 v4, v11, v8, s1
	v_cndmask_b32_e64 v8, -v9, v9, s0
	v_cndmask_b32_e64 v9, -v13, v13, s0
	s_waitcnt lgkmcnt(5)
	v_add_f32_e32 v3, v3, v17
	s_waitcnt lgkmcnt(4)
	v_add_f32_e32 v7, v7, v19
	v_lshlrev_b32_e32 v17, 2, v4
	s_waitcnt lgkmcnt(3)
	v_add_f32_e32 v12, v5, v14
	s_waitcnt lgkmcnt(2)
	v_add_f32_e32 v14, v8, v15
	;; [unrolled: 2-line block ×4, first 2 shown]
	ds_bpermute_b32 v4, v17, v2
	ds_bpermute_b32 v5, v17, v3
	;; [unrolled: 1-line block ×8, first 2 shown]
	s_and_saveexec_b32 s0, vcc_lo
	s_cbranch_execz .LBB17_4
; %bb.3:
	s_load_dwordx2 s[0:1], s[4:5], 0x18
	v_and_b32_e32 v0, 8, v0
	s_clause 0x1
	s_load_dwordx2 s[8:9], s[4:5], 0x30
	s_load_dword s3, s[4:5], 0x20
	v_cmp_eq_u32_e32 vcc_lo, 0, v0
	v_cndmask_b32_e64 v15, -v15, v15, vcc_lo
	v_cndmask_b32_e64 v12, -v12, v12, vcc_lo
	;; [unrolled: 1-line block ×8, first 2 shown]
	s_waitcnt lgkmcnt(0)
	v_add_f32_e32 v13, v15, v13
	v_add_f32_e32 v10, v12, v10
	;; [unrolled: 1-line block ×4, first 2 shown]
	s_mul_i32 s2, s0, s2
	s_mul_hi_u32 s4, s0, s6
	v_add_f32_e32 v0, v0, v17
	v_add_f32_e32 v11, v14, v11
	;; [unrolled: 1-line block ×4, first 2 shown]
	v_fma_mixlo_f16 v5, s3, v13, 0
	v_fma_mixlo_f16 v4, s3, v10, 0
	;; [unrolled: 1-line block ×4, first 2 shown]
	s_mul_i32 s1, s1, s6
	s_add_i32 s2, s4, s2
	s_mul_i32 s0, s0, s6
	s_add_i32 s1, s2, s1
	v_fma_mixhi_f16 v5, s3, v0, 0
	s_lshl_b64 s[0:1], s[0:1], 1
	v_fma_mixhi_f16 v4, s3, v11, 0
	v_fma_mixhi_f16 v3, s3, v7, 0
	;; [unrolled: 1-line block ×3, first 2 shown]
	s_add_u32 s0, s8, s0
	s_addc_u32 s1, s9, s1
	global_store_dwordx4 v1, v[2:5], s[0:1]
.LBB17_4:
	s_endpgm
	.section	.rodata,"a",@progbits
	.p2align	6, 0x0
	.amdhsa_kernel _Z30fast_hadamard_transform_kernelI37fast_hadamard_transform_kernel_traitsILi16ELi7E6__halfEEv18HadamardParamsBase
		.amdhsa_group_segment_fixed_size 0
		.amdhsa_private_segment_fixed_size 0
		.amdhsa_kernarg_size 56
		.amdhsa_user_sgpr_count 6
		.amdhsa_user_sgpr_private_segment_buffer 1
		.amdhsa_user_sgpr_dispatch_ptr 0
		.amdhsa_user_sgpr_queue_ptr 0
		.amdhsa_user_sgpr_kernarg_segment_ptr 1
		.amdhsa_user_sgpr_dispatch_id 0
		.amdhsa_user_sgpr_flat_scratch_init 0
		.amdhsa_user_sgpr_private_segment_size 0
		.amdhsa_wavefront_size32 1
		.amdhsa_uses_dynamic_stack 0
		.amdhsa_system_sgpr_private_segment_wavefront_offset 0
		.amdhsa_system_sgpr_workgroup_id_x 1
		.amdhsa_system_sgpr_workgroup_id_y 0
		.amdhsa_system_sgpr_workgroup_id_z 0
		.amdhsa_system_sgpr_workgroup_info 0
		.amdhsa_system_vgpr_workitem_id 0
		.amdhsa_next_free_vgpr 22
		.amdhsa_next_free_sgpr 12
		.amdhsa_reserve_vcc 1
		.amdhsa_reserve_flat_scratch 0
		.amdhsa_float_round_mode_32 0
		.amdhsa_float_round_mode_16_64 0
		.amdhsa_float_denorm_mode_32 3
		.amdhsa_float_denorm_mode_16_64 3
		.amdhsa_dx10_clamp 1
		.amdhsa_ieee_mode 1
		.amdhsa_fp16_overflow 0
		.amdhsa_workgroup_processor_mode 1
		.amdhsa_memory_ordered 1
		.amdhsa_forward_progress 1
		.amdhsa_shared_vgpr_count 0
		.amdhsa_exception_fp_ieee_invalid_op 0
		.amdhsa_exception_fp_denorm_src 0
		.amdhsa_exception_fp_ieee_div_zero 0
		.amdhsa_exception_fp_ieee_overflow 0
		.amdhsa_exception_fp_ieee_underflow 0
		.amdhsa_exception_fp_ieee_inexact 0
		.amdhsa_exception_int_div_zero 0
	.end_amdhsa_kernel
	.section	.text._Z30fast_hadamard_transform_kernelI37fast_hadamard_transform_kernel_traitsILi16ELi7E6__halfEEv18HadamardParamsBase,"axG",@progbits,_Z30fast_hadamard_transform_kernelI37fast_hadamard_transform_kernel_traitsILi16ELi7E6__halfEEv18HadamardParamsBase,comdat
.Lfunc_end17:
	.size	_Z30fast_hadamard_transform_kernelI37fast_hadamard_transform_kernel_traitsILi16ELi7E6__halfEEv18HadamardParamsBase, .Lfunc_end17-_Z30fast_hadamard_transform_kernelI37fast_hadamard_transform_kernel_traitsILi16ELi7E6__halfEEv18HadamardParamsBase
                                        ; -- End function
	.set _Z30fast_hadamard_transform_kernelI37fast_hadamard_transform_kernel_traitsILi16ELi7E6__halfEEv18HadamardParamsBase.num_vgpr, 22
	.set _Z30fast_hadamard_transform_kernelI37fast_hadamard_transform_kernel_traitsILi16ELi7E6__halfEEv18HadamardParamsBase.num_agpr, 0
	.set _Z30fast_hadamard_transform_kernelI37fast_hadamard_transform_kernel_traitsILi16ELi7E6__halfEEv18HadamardParamsBase.numbered_sgpr, 12
	.set _Z30fast_hadamard_transform_kernelI37fast_hadamard_transform_kernel_traitsILi16ELi7E6__halfEEv18HadamardParamsBase.num_named_barrier, 0
	.set _Z30fast_hadamard_transform_kernelI37fast_hadamard_transform_kernel_traitsILi16ELi7E6__halfEEv18HadamardParamsBase.private_seg_size, 0
	.set _Z30fast_hadamard_transform_kernelI37fast_hadamard_transform_kernel_traitsILi16ELi7E6__halfEEv18HadamardParamsBase.uses_vcc, 1
	.set _Z30fast_hadamard_transform_kernelI37fast_hadamard_transform_kernel_traitsILi16ELi7E6__halfEEv18HadamardParamsBase.uses_flat_scratch, 0
	.set _Z30fast_hadamard_transform_kernelI37fast_hadamard_transform_kernel_traitsILi16ELi7E6__halfEEv18HadamardParamsBase.has_dyn_sized_stack, 0
	.set _Z30fast_hadamard_transform_kernelI37fast_hadamard_transform_kernel_traitsILi16ELi7E6__halfEEv18HadamardParamsBase.has_recursion, 0
	.set _Z30fast_hadamard_transform_kernelI37fast_hadamard_transform_kernel_traitsILi16ELi7E6__halfEEv18HadamardParamsBase.has_indirect_call, 0
	.section	.AMDGPU.csdata,"",@progbits
; Kernel info:
; codeLenInByte = 1320
; TotalNumSgprs: 14
; NumVgprs: 22
; ScratchSize: 0
; MemoryBound: 0
; FloatMode: 240
; IeeeMode: 1
; LDSByteSize: 0 bytes/workgroup (compile time only)
; SGPRBlocks: 0
; VGPRBlocks: 2
; NumSGPRsForWavesPerEU: 14
; NumVGPRsForWavesPerEU: 22
; Occupancy: 16
; WaveLimiterHint : 0
; COMPUTE_PGM_RSRC2:SCRATCH_EN: 0
; COMPUTE_PGM_RSRC2:USER_SGPR: 6
; COMPUTE_PGM_RSRC2:TRAP_HANDLER: 0
; COMPUTE_PGM_RSRC2:TGID_X_EN: 1
; COMPUTE_PGM_RSRC2:TGID_Y_EN: 0
; COMPUTE_PGM_RSRC2:TGID_Z_EN: 0
; COMPUTE_PGM_RSRC2:TIDIG_COMP_CNT: 0
	.section	.text._Z30fast_hadamard_transform_kernelI37fast_hadamard_transform_kernel_traitsILi32ELi8E6__halfEEv18HadamardParamsBase,"axG",@progbits,_Z30fast_hadamard_transform_kernelI37fast_hadamard_transform_kernel_traitsILi32ELi8E6__halfEEv18HadamardParamsBase,comdat
	.protected	_Z30fast_hadamard_transform_kernelI37fast_hadamard_transform_kernel_traitsILi32ELi8E6__halfEEv18HadamardParamsBase ; -- Begin function _Z30fast_hadamard_transform_kernelI37fast_hadamard_transform_kernel_traitsILi32ELi8E6__halfEEv18HadamardParamsBase
	.globl	_Z30fast_hadamard_transform_kernelI37fast_hadamard_transform_kernel_traitsILi32ELi8E6__halfEEv18HadamardParamsBase
	.p2align	8
	.type	_Z30fast_hadamard_transform_kernelI37fast_hadamard_transform_kernel_traitsILi32ELi8E6__halfEEv18HadamardParamsBase,@function
_Z30fast_hadamard_transform_kernelI37fast_hadamard_transform_kernel_traitsILi32ELi8E6__halfEEv18HadamardParamsBase: ; @_Z30fast_hadamard_transform_kernelI37fast_hadamard_transform_kernel_traitsILi32ELi8E6__halfEEv18HadamardParamsBase
; %bb.0:
	s_load_dword s0, s[4:5], 0x4
	v_lshlrev_b32_e32 v9, 3, v0
	v_mov_b32_e32 v2, 0
	v_mov_b32_e32 v3, 0
	;; [unrolled: 1-line block ×7, first 2 shown]
	v_lshlrev_b32_e32 v1, 4, v0
	s_ashr_i32 s2, s6, 31
	s_waitcnt lgkmcnt(0)
	v_cmp_gt_u32_e32 vcc_lo, s0, v9
	v_mov_b32_e32 v9, 0
	s_and_saveexec_b32 s0, vcc_lo
	s_cbranch_execz .LBB18_2
; %bb.1:
	s_clause 0x1
	s_load_dwordx2 s[8:9], s[4:5], 0x10
	s_load_dwordx2 s[10:11], s[4:5], 0x28
	s_waitcnt lgkmcnt(0)
	s_mul_i32 s1, s8, s2
	s_mul_hi_u32 s3, s8, s6
	s_mul_i32 s7, s9, s6
	s_add_i32 s1, s3, s1
	s_mul_i32 s8, s8, s6
	s_add_i32 s9, s1, s7
	s_lshl_b64 s[8:9], s[8:9], 1
	s_add_u32 s8, s10, s8
	s_addc_u32 s9, s11, s9
	global_load_dwordx4 v[10:13], v1, s[8:9]
	s_waitcnt vmcnt(0)
	v_cvt_f32_f16_e32 v9, v10
	v_cvt_f32_f16_sdwa v8, v10 dst_sel:DWORD dst_unused:UNUSED_PAD src0_sel:WORD_1
	v_cvt_f32_f16_e32 v7, v11
	v_cvt_f32_f16_sdwa v6, v11 dst_sel:DWORD dst_unused:UNUSED_PAD src0_sel:WORD_1
	;; [unrolled: 2-line block ×4, first 2 shown]
.LBB18_2:
	s_or_b32 exec_lo, exec_lo, s0
	v_mbcnt_lo_u32_b32 v10, -1, 0
	v_add_f32_e32 v11, v8, v9
	v_add_f32_e32 v12, v6, v7
	;; [unrolled: 1-line block ×4, first 2 shown]
	v_xor_b32_e32 v15, 1, v10
	v_sub_f32_e32 v8, v9, v8
	v_add_f32_e32 v9, v12, v11
	v_sub_f32_e32 v6, v7, v6
	v_add_f32_e32 v16, v14, v13
	v_cmp_gt_i32_e64 s0, 32, v15
	v_sub_f32_e32 v4, v5, v4
	v_sub_f32_e32 v2, v3, v2
	;; [unrolled: 1-line block ×3, first 2 shown]
	v_add_f32_e32 v3, v16, v9
	v_cndmask_b32_e64 v15, v10, v15, s0
	v_add_f32_e32 v11, v6, v8
	v_sub_f32_e32 v6, v8, v6
	v_add_f32_e32 v8, v2, v4
	v_sub_f32_e32 v13, v13, v14
	v_lshlrev_b32_e32 v5, 2, v15
	v_sub_f32_e32 v2, v4, v2
	v_and_b32_e32 v4, 1, v0
	v_xor_b32_e32 v14, 2, v10
	v_add_f32_e32 v15, v8, v11
	ds_bpermute_b32 v12, v5, v3
	v_add_f32_e32 v17, v13, v7
	v_add_f32_e32 v18, v2, v6
	v_sub_f32_e32 v9, v9, v16
	v_sub_f32_e32 v8, v11, v8
	ds_bpermute_b32 v11, v5, v15
	ds_bpermute_b32 v16, v5, v17
	;; [unrolled: 1-line block ×4, first 2 shown]
	v_cmp_eq_u32_e64 s0, 0, v4
	v_sub_f32_e32 v4, v7, v13
	v_sub_f32_e32 v2, v6, v2
	v_cmp_gt_i32_e64 s1, 32, v14
	v_cndmask_b32_e64 v7, -v15, v15, s0
	ds_bpermute_b32 v15, v5, v4
	v_cndmask_b32_e64 v3, -v3, v3, s0
	v_cndmask_b32_e64 v6, v10, v14, s1
	ds_bpermute_b32 v14, v5, v8
	ds_bpermute_b32 v5, v5, v2
	v_cndmask_b32_e64 v13, -v18, v18, s0
	s_waitcnt lgkmcnt(7)
	v_add_f32_e32 v3, v3, v12
	v_cndmask_b32_e64 v12, -v17, v17, s0
	v_cndmask_b32_e64 v9, -v9, v9, s0
	v_lshlrev_b32_e32 v6, 2, v6
	s_waitcnt lgkmcnt(6)
	v_add_f32_e32 v7, v7, v11
	v_cndmask_b32_e64 v8, -v8, v8, s0
	s_waitcnt lgkmcnt(5)
	v_add_f32_e32 v11, v12, v16
	s_waitcnt lgkmcnt(4)
	v_add_f32_e32 v12, v13, v19
	;; [unrolled: 2-line block ×3, first 2 shown]
	v_cndmask_b32_e64 v4, -v4, v4, s0
	v_and_b32_e32 v13, 2, v0
	v_cndmask_b32_e64 v2, -v2, v2, s0
	ds_bpermute_b32 v18, v6, v11
	ds_bpermute_b32 v17, v6, v3
	s_waitcnt lgkmcnt(4)
	v_add_f32_e32 v4, v4, v15
	v_cmp_eq_u32_e64 s0, 0, v13
	ds_bpermute_b32 v13, v6, v9
	s_waitcnt lgkmcnt(4)
	v_add_f32_e32 v8, v8, v14
	s_waitcnt lgkmcnt(3)
	v_add_f32_e32 v2, v2, v5
	ds_bpermute_b32 v16, v6, v7
	ds_bpermute_b32 v19, v6, v12
	v_cndmask_b32_e64 v5, -v7, v7, s0
	v_cndmask_b32_e64 v7, -v11, v11, s0
	v_xor_b32_e32 v11, 4, v10
	ds_bpermute_b32 v14, v6, v8
	ds_bpermute_b32 v15, v6, v4
	;; [unrolled: 1-line block ×3, first 2 shown]
	v_cndmask_b32_e64 v9, -v9, v9, s0
	v_cmp_gt_i32_e64 s1, 32, v11
	v_cndmask_b32_e64 v3, -v3, v3, s0
	v_cndmask_b32_e64 v12, -v12, v12, s0
	v_cndmask_b32_e64 v8, -v8, v8, s0
	s_waitcnt lgkmcnt(7)
	v_add_f32_e32 v7, v7, v18
	v_cndmask_b32_e64 v11, v10, v11, s1
	v_cndmask_b32_e64 v4, -v4, v4, s0
	v_cndmask_b32_e64 v2, -v2, v2, s0
	s_waitcnt lgkmcnt(5)
	v_add_f32_e32 v9, v9, v13
	v_and_b32_e32 v13, 4, v0
	v_lshlrev_b32_e32 v11, 2, v11
	v_add_f32_e32 v3, v3, v17
	s_waitcnt lgkmcnt(4)
	v_add_f32_e32 v5, v5, v16
	s_waitcnt lgkmcnt(3)
	v_add_f32_e32 v12, v12, v19
	v_cmp_eq_u32_e64 s0, 0, v13
	ds_bpermute_b32 v18, v11, v7
	s_waitcnt lgkmcnt(3)
	v_add_f32_e32 v8, v8, v14
	s_waitcnt lgkmcnt(2)
	v_add_f32_e32 v4, v4, v15
	;; [unrolled: 2-line block ×3, first 2 shown]
	ds_bpermute_b32 v16, v11, v3
	ds_bpermute_b32 v17, v11, v5
	;; [unrolled: 1-line block ×3, first 2 shown]
	v_cndmask_b32_e64 v6, -v7, v7, s0
	v_xor_b32_e32 v7, 8, v10
	ds_bpermute_b32 v13, v11, v9
	ds_bpermute_b32 v14, v11, v8
	;; [unrolled: 1-line block ×4, first 2 shown]
	v_cmp_gt_i32_e64 s1, 32, v7
	v_cndmask_b32_e64 v3, -v3, v3, s0
	v_cndmask_b32_e64 v5, -v5, v5, s0
	;; [unrolled: 1-line block ×4, first 2 shown]
	v_cndmask_b32_e64 v7, v10, v7, s1
	v_cndmask_b32_e64 v8, -v8, v8, s0
	s_waitcnt lgkmcnt(7)
	v_add_f32_e32 v6, v6, v18
	v_cndmask_b32_e64 v4, -v4, v4, s0
	v_cndmask_b32_e64 v2, -v2, v2, s0
	v_lshlrev_b32_e32 v7, 2, v7
	s_waitcnt lgkmcnt(6)
	v_add_f32_e32 v3, v3, v16
	s_waitcnt lgkmcnt(5)
	v_add_f32_e32 v5, v5, v17
	;; [unrolled: 2-line block ×3, first 2 shown]
	v_and_b32_e32 v20, 8, v0
	ds_bpermute_b32 v18, v7, v6
	s_waitcnt lgkmcnt(4)
	v_add_f32_e32 v9, v9, v13
	s_waitcnt lgkmcnt(3)
	v_add_f32_e32 v8, v8, v14
	;; [unrolled: 2-line block ×4, first 2 shown]
	ds_bpermute_b32 v16, v7, v3
	ds_bpermute_b32 v17, v7, v5
	;; [unrolled: 1-line block ×3, first 2 shown]
	v_cmp_eq_u32_e64 s0, 0, v20
	ds_bpermute_b32 v13, v7, v9
	ds_bpermute_b32 v14, v7, v8
	;; [unrolled: 1-line block ×4, first 2 shown]
	v_cndmask_b32_e64 v7, -v12, v12, s0
	v_xor_b32_e32 v12, 16, v10
	v_cndmask_b32_e64 v2, -v3, v3, s0
	v_cndmask_b32_e64 v3, -v5, v5, s0
	;; [unrolled: 1-line block ×4, first 2 shown]
	v_cmp_gt_i32_e64 s1, 32, v12
	v_cndmask_b32_e64 v8, -v8, v8, s0
	v_cndmask_b32_e64 v4, -v4, v4, s0
	s_waitcnt lgkmcnt(7)
	v_add_f32_e32 v6, v5, v18
	v_cndmask_b32_e64 v5, v10, v12, s1
	v_cndmask_b32_e64 v10, -v11, v11, s0
	s_waitcnt lgkmcnt(6)
	v_add_f32_e32 v2, v2, v16
	s_waitcnt lgkmcnt(5)
	v_add_f32_e32 v3, v3, v17
	;; [unrolled: 2-line block ×3, first 2 shown]
	v_lshlrev_b32_e32 v17, 2, v5
	s_waitcnt lgkmcnt(3)
	v_add_f32_e32 v12, v9, v13
	s_waitcnt lgkmcnt(2)
	v_add_f32_e32 v14, v8, v14
	s_waitcnt lgkmcnt(1)
	v_add_f32_e32 v15, v4, v15
	s_waitcnt lgkmcnt(0)
	v_add_f32_e32 v16, v10, v20
	ds_bpermute_b32 v4, v17, v2
	ds_bpermute_b32 v5, v17, v3
	;; [unrolled: 1-line block ×8, first 2 shown]
	s_and_saveexec_b32 s0, vcc_lo
	s_cbranch_execz .LBB18_4
; %bb.3:
	s_load_dwordx2 s[0:1], s[4:5], 0x18
	v_and_b32_e32 v0, 16, v0
	s_clause 0x1
	s_load_dwordx2 s[8:9], s[4:5], 0x30
	s_load_dword s3, s[4:5], 0x20
	v_cmp_eq_u32_e32 vcc_lo, 0, v0
	v_cndmask_b32_e64 v15, -v15, v15, vcc_lo
	v_cndmask_b32_e64 v12, -v12, v12, vcc_lo
	;; [unrolled: 1-line block ×8, first 2 shown]
	s_waitcnt lgkmcnt(0)
	v_add_f32_e32 v13, v15, v13
	v_add_f32_e32 v10, v12, v10
	;; [unrolled: 1-line block ×4, first 2 shown]
	s_mul_i32 s2, s0, s2
	s_mul_hi_u32 s4, s0, s6
	v_add_f32_e32 v0, v0, v17
	v_add_f32_e32 v11, v14, v11
	;; [unrolled: 1-line block ×4, first 2 shown]
	v_fma_mixlo_f16 v5, s3, v13, 0
	v_fma_mixlo_f16 v4, s3, v10, 0
	v_fma_mixlo_f16 v3, s3, v6, 0
	v_fma_mixlo_f16 v2, s3, v2, 0
	s_mul_i32 s1, s1, s6
	s_add_i32 s2, s4, s2
	s_mul_i32 s0, s0, s6
	s_add_i32 s1, s2, s1
	v_fma_mixhi_f16 v5, s3, v0, 0
	s_lshl_b64 s[0:1], s[0:1], 1
	v_fma_mixhi_f16 v4, s3, v11, 0
	v_fma_mixhi_f16 v3, s3, v7, 0
	;; [unrolled: 1-line block ×3, first 2 shown]
	s_add_u32 s0, s8, s0
	s_addc_u32 s1, s9, s1
	global_store_dwordx4 v1, v[2:5], s[0:1]
.LBB18_4:
	s_endpgm
	.section	.rodata,"a",@progbits
	.p2align	6, 0x0
	.amdhsa_kernel _Z30fast_hadamard_transform_kernelI37fast_hadamard_transform_kernel_traitsILi32ELi8E6__halfEEv18HadamardParamsBase
		.amdhsa_group_segment_fixed_size 0
		.amdhsa_private_segment_fixed_size 0
		.amdhsa_kernarg_size 56
		.amdhsa_user_sgpr_count 6
		.amdhsa_user_sgpr_private_segment_buffer 1
		.amdhsa_user_sgpr_dispatch_ptr 0
		.amdhsa_user_sgpr_queue_ptr 0
		.amdhsa_user_sgpr_kernarg_segment_ptr 1
		.amdhsa_user_sgpr_dispatch_id 0
		.amdhsa_user_sgpr_flat_scratch_init 0
		.amdhsa_user_sgpr_private_segment_size 0
		.amdhsa_wavefront_size32 1
		.amdhsa_uses_dynamic_stack 0
		.amdhsa_system_sgpr_private_segment_wavefront_offset 0
		.amdhsa_system_sgpr_workgroup_id_x 1
		.amdhsa_system_sgpr_workgroup_id_y 0
		.amdhsa_system_sgpr_workgroup_id_z 0
		.amdhsa_system_sgpr_workgroup_info 0
		.amdhsa_system_vgpr_workitem_id 0
		.amdhsa_next_free_vgpr 21
		.amdhsa_next_free_sgpr 12
		.amdhsa_reserve_vcc 1
		.amdhsa_reserve_flat_scratch 0
		.amdhsa_float_round_mode_32 0
		.amdhsa_float_round_mode_16_64 0
		.amdhsa_float_denorm_mode_32 3
		.amdhsa_float_denorm_mode_16_64 3
		.amdhsa_dx10_clamp 1
		.amdhsa_ieee_mode 1
		.amdhsa_fp16_overflow 0
		.amdhsa_workgroup_processor_mode 1
		.amdhsa_memory_ordered 1
		.amdhsa_forward_progress 1
		.amdhsa_shared_vgpr_count 0
		.amdhsa_exception_fp_ieee_invalid_op 0
		.amdhsa_exception_fp_denorm_src 0
		.amdhsa_exception_fp_ieee_div_zero 0
		.amdhsa_exception_fp_ieee_overflow 0
		.amdhsa_exception_fp_ieee_underflow 0
		.amdhsa_exception_fp_ieee_inexact 0
		.amdhsa_exception_int_div_zero 0
	.end_amdhsa_kernel
	.section	.text._Z30fast_hadamard_transform_kernelI37fast_hadamard_transform_kernel_traitsILi32ELi8E6__halfEEv18HadamardParamsBase,"axG",@progbits,_Z30fast_hadamard_transform_kernelI37fast_hadamard_transform_kernel_traitsILi32ELi8E6__halfEEv18HadamardParamsBase,comdat
.Lfunc_end18:
	.size	_Z30fast_hadamard_transform_kernelI37fast_hadamard_transform_kernel_traitsILi32ELi8E6__halfEEv18HadamardParamsBase, .Lfunc_end18-_Z30fast_hadamard_transform_kernelI37fast_hadamard_transform_kernel_traitsILi32ELi8E6__halfEEv18HadamardParamsBase
                                        ; -- End function
	.set _Z30fast_hadamard_transform_kernelI37fast_hadamard_transform_kernel_traitsILi32ELi8E6__halfEEv18HadamardParamsBase.num_vgpr, 21
	.set _Z30fast_hadamard_transform_kernelI37fast_hadamard_transform_kernel_traitsILi32ELi8E6__halfEEv18HadamardParamsBase.num_agpr, 0
	.set _Z30fast_hadamard_transform_kernelI37fast_hadamard_transform_kernel_traitsILi32ELi8E6__halfEEv18HadamardParamsBase.numbered_sgpr, 12
	.set _Z30fast_hadamard_transform_kernelI37fast_hadamard_transform_kernel_traitsILi32ELi8E6__halfEEv18HadamardParamsBase.num_named_barrier, 0
	.set _Z30fast_hadamard_transform_kernelI37fast_hadamard_transform_kernel_traitsILi32ELi8E6__halfEEv18HadamardParamsBase.private_seg_size, 0
	.set _Z30fast_hadamard_transform_kernelI37fast_hadamard_transform_kernel_traitsILi32ELi8E6__halfEEv18HadamardParamsBase.uses_vcc, 1
	.set _Z30fast_hadamard_transform_kernelI37fast_hadamard_transform_kernel_traitsILi32ELi8E6__halfEEv18HadamardParamsBase.uses_flat_scratch, 0
	.set _Z30fast_hadamard_transform_kernelI37fast_hadamard_transform_kernel_traitsILi32ELi8E6__halfEEv18HadamardParamsBase.has_dyn_sized_stack, 0
	.set _Z30fast_hadamard_transform_kernelI37fast_hadamard_transform_kernel_traitsILi32ELi8E6__halfEEv18HadamardParamsBase.has_recursion, 0
	.set _Z30fast_hadamard_transform_kernelI37fast_hadamard_transform_kernel_traitsILi32ELi8E6__halfEEv18HadamardParamsBase.has_indirect_call, 0
	.section	.AMDGPU.csdata,"",@progbits
; Kernel info:
; codeLenInByte = 1548
; TotalNumSgprs: 14
; NumVgprs: 21
; ScratchSize: 0
; MemoryBound: 0
; FloatMode: 240
; IeeeMode: 1
; LDSByteSize: 0 bytes/workgroup (compile time only)
; SGPRBlocks: 0
; VGPRBlocks: 2
; NumSGPRsForWavesPerEU: 14
; NumVGPRsForWavesPerEU: 21
; Occupancy: 16
; WaveLimiterHint : 0
; COMPUTE_PGM_RSRC2:SCRATCH_EN: 0
; COMPUTE_PGM_RSRC2:USER_SGPR: 6
; COMPUTE_PGM_RSRC2:TRAP_HANDLER: 0
; COMPUTE_PGM_RSRC2:TGID_X_EN: 1
; COMPUTE_PGM_RSRC2:TGID_Y_EN: 0
; COMPUTE_PGM_RSRC2:TGID_Z_EN: 0
; COMPUTE_PGM_RSRC2:TIDIG_COMP_CNT: 0
	.section	.text._Z30fast_hadamard_transform_kernelI37fast_hadamard_transform_kernel_traitsILi32ELi9E6__halfEEv18HadamardParamsBase,"axG",@progbits,_Z30fast_hadamard_transform_kernelI37fast_hadamard_transform_kernel_traitsILi32ELi9E6__halfEEv18HadamardParamsBase,comdat
	.protected	_Z30fast_hadamard_transform_kernelI37fast_hadamard_transform_kernel_traitsILi32ELi9E6__halfEEv18HadamardParamsBase ; -- Begin function _Z30fast_hadamard_transform_kernelI37fast_hadamard_transform_kernel_traitsILi32ELi9E6__halfEEv18HadamardParamsBase
	.globl	_Z30fast_hadamard_transform_kernelI37fast_hadamard_transform_kernel_traitsILi32ELi9E6__halfEEv18HadamardParamsBase
	.p2align	8
	.type	_Z30fast_hadamard_transform_kernelI37fast_hadamard_transform_kernel_traitsILi32ELi9E6__halfEEv18HadamardParamsBase,@function
_Z30fast_hadamard_transform_kernelI37fast_hadamard_transform_kernel_traitsILi32ELi9E6__halfEEv18HadamardParamsBase: ; @_Z30fast_hadamard_transform_kernelI37fast_hadamard_transform_kernel_traitsILi32ELi9E6__halfEEv18HadamardParamsBase
; %bb.0:
	s_clause 0x3
	s_load_dwordx4 s[12:15], s[4:5], 0x10
	s_load_dword s0, s[4:5], 0x4
	s_load_dwordx4 s[8:11], s[4:5], 0x28
	s_load_dword s1, s[4:5], 0x44
	s_ashr_i32 s7, s6, 31
	v_lshlrev_b32_e32 v2, 3, v0
	v_mov_b32_e32 v3, 0
	v_mov_b32_e32 v4, 0
	;; [unrolled: 1-line block ×8, first 2 shown]
	v_lshlrev_b32_e32 v1, 4, v0
	v_mov_b32_e32 v11, 0
	s_waitcnt lgkmcnt(0)
	s_mul_hi_u32 s2, s12, s6
	s_mul_i32 s3, s12, s7
	s_mul_i32 s13, s13, s6
	s_add_i32 s3, s2, s3
	s_mul_i32 s2, s12, s6
	s_add_i32 s3, s3, s13
	v_cmp_gt_u32_e32 vcc_lo, s0, v2
	s_lshl_b64 s[2:3], s[2:3], 1
	s_add_u32 s2, s8, s2
	s_addc_u32 s3, s9, s3
	s_and_saveexec_b32 s8, vcc_lo
	s_cbranch_execz .LBB19_2
; %bb.1:
	global_load_dwordx4 v[12:15], v1, s[2:3]
	s_waitcnt vmcnt(0)
	v_cvt_f32_f16_e32 v11, v12
	v_cvt_f32_f16_sdwa v10, v12 dst_sel:DWORD dst_unused:UNUSED_PAD src0_sel:WORD_1
	v_cvt_f32_f16_e32 v9, v13
	v_cvt_f32_f16_sdwa v8, v13 dst_sel:DWORD dst_unused:UNUSED_PAD src0_sel:WORD_1
	;; [unrolled: 2-line block ×4, first 2 shown]
.LBB19_2:
	s_or_b32 exec_lo, exec_lo, s8
	s_and_b32 s1, 0xffff, s1
	v_mov_b32_e32 v12, 0
	v_add_nc_u32_e32 v2, s1, v0
	v_mov_b32_e32 v13, 0
	v_mov_b32_e32 v14, 0
	;; [unrolled: 1-line block ×4, first 2 shown]
	v_lshlrev_b32_e32 v18, 3, v2
	v_mov_b32_e32 v17, 0
	v_lshlrev_b32_e32 v2, 4, v2
	v_cmp_gt_u32_e64 s0, s0, v18
	v_mov_b32_e32 v18, 0
	s_and_saveexec_b32 s1, s0
	s_cbranch_execz .LBB19_4
; %bb.3:
	global_load_dwordx4 v[19:22], v2, s[2:3]
	s_waitcnt vmcnt(0)
	v_cvt_f32_f16_e32 v18, v19
	v_cvt_f32_f16_sdwa v17, v19 dst_sel:DWORD dst_unused:UNUSED_PAD src0_sel:WORD_1
	v_cvt_f32_f16_e32 v16, v20
	v_cvt_f32_f16_sdwa v15, v20 dst_sel:DWORD dst_unused:UNUSED_PAD src0_sel:WORD_1
	;; [unrolled: 2-line block ×4, first 2 shown]
.LBB19_4:
	s_or_b32 exec_lo, exec_lo, s1
	v_mbcnt_lo_u32_b32 v20, -1, 0
	v_add_f32_e32 v19, v10, v11
	v_sub_f32_e32 v10, v11, v10
	v_add_f32_e32 v11, v17, v18
	v_sub_f32_e32 v17, v18, v17
	v_xor_b32_e32 v21, 1, v20
	v_add_f32_e32 v18, v8, v9
	v_sub_f32_e32 v8, v9, v8
	v_add_f32_e32 v9, v15, v16
	v_sub_f32_e32 v15, v16, v15
	;; [unrolled: 2-line block ×4, first 2 shown]
	v_add_f32_e32 v14, v4, v5
	v_cmp_gt_i32_e64 s1, 32, v21
	v_sub_f32_e32 v4, v5, v4
	v_add_f32_e32 v5, v3, v12
	v_sub_f32_e32 v3, v12, v3
	v_add_f32_e32 v12, v18, v19
	;; [unrolled: 2-line block ×6, first 2 shown]
	v_cndmask_b32_e64 v21, v20, v21, s1
	v_sub_f32_e32 v14, v16, v14
	v_add_f32_e32 v16, v5, v7
	v_sub_f32_e32 v5, v7, v5
	v_add_f32_e32 v7, v4, v6
	;; [unrolled: 2-line block ×4, first 2 shown]
	v_lshlrev_b32_e32 v21, 2, v21
	v_sub_f32_e32 v12, v12, v17
	v_add_f32_e32 v17, v16, v19
	v_sub_f32_e32 v16, v19, v16
	v_add_f32_e32 v19, v7, v11
	ds_bpermute_b32 v22, v21, v13
	v_sub_f32_e32 v7, v11, v7
	v_add_f32_e32 v11, v6, v10
	v_sub_f32_e32 v6, v10, v6
	v_add_f32_e32 v10, v14, v18
	v_sub_f32_e32 v14, v18, v14
	v_and_b32_e32 v18, 1, v0
	ds_bpermute_b32 v24, v21, v19
	v_add_f32_e32 v23, v4, v8
	v_sub_f32_e32 v4, v8, v4
	v_add_f32_e32 v29, v5, v9
	v_cmp_eq_u32_e64 s2, 0, v18
	v_sub_f32_e32 v5, v9, v5
	v_add_f32_e32 v8, v3, v15
	v_sub_f32_e32 v3, v15, v3
	ds_bpermute_b32 v15, v21, v14
	v_cndmask_b32_e64 v13, -v13, v13, s2
	ds_bpermute_b32 v18, v21, v4
	ds_bpermute_b32 v25, v21, v10
	;; [unrolled: 1-line block ×4, first 2 shown]
	s_waitcnt lgkmcnt(6)
	v_add_f32_e32 v9, v13, v22
	v_cndmask_b32_e64 v13, -v19, v19, s2
	ds_bpermute_b32 v28, v21, v7
	ds_bpermute_b32 v22, v21, v17
	v_cndmask_b32_e64 v19, -v23, v23, s2
	ds_bpermute_b32 v23, v21, v11
	s_waitcnt lgkmcnt(8)
	v_add_f32_e32 v13, v13, v24
	v_xor_b32_e32 v24, 2, v20
	v_cndmask_b32_e64 v14, -v14, v14, s2
	v_cndmask_b32_e64 v4, -v4, v4, s2
	;; [unrolled: 1-line block ×4, first 2 shown]
	v_cmp_gt_i32_e64 s1, 32, v24
	v_cndmask_b32_e64 v7, -v7, v7, s2
	s_waitcnt lgkmcnt(7)
	v_add_f32_e32 v14, v14, v15
	v_cndmask_b32_e64 v11, -v11, v11, s2
	s_waitcnt lgkmcnt(6)
	v_add_f32_e32 v15, v4, v18
	v_cndmask_b32_e64 v24, v20, v24, s1
	v_cndmask_b32_e64 v4, -v17, v17, s2
	s_waitcnt lgkmcnt(5)
	v_add_f32_e32 v10, v10, v25
	s_waitcnt lgkmcnt(4)
	v_add_f32_e32 v19, v19, v26
	;; [unrolled: 2-line block ×3, first 2 shown]
	v_lshlrev_b32_e32 v17, 2, v24
	s_waitcnt lgkmcnt(2)
	v_add_f32_e32 v7, v7, v28
	ds_bpermute_b32 v25, v21, v29
	ds_bpermute_b32 v26, v21, v8
	;; [unrolled: 1-line block ×3, first 2 shown]
	v_cndmask_b32_e64 v18, -v29, v29, s2
	ds_bpermute_b32 v24, v21, v6
	ds_bpermute_b32 v28, v21, v5
	;; [unrolled: 1-line block ×4, first 2 shown]
	s_waitcnt lgkmcnt(8)
	v_add_f32_e32 v4, v4, v22
	v_xor_b32_e32 v22, 4, v20
	s_waitcnt lgkmcnt(7)
	v_add_f32_e32 v11, v11, v23
	v_and_b32_e32 v23, 2, v0
	v_cndmask_b32_e64 v6, -v6, v6, s2
	v_cndmask_b32_e64 v5, -v5, v5, s2
	v_cmp_gt_i32_e64 s1, 32, v22
	v_cndmask_b32_e64 v3, -v3, v3, s2
	v_cndmask_b32_e64 v8, -v8, v8, s2
	ds_bpermute_b32 v30, v17, v4
	ds_bpermute_b32 v31, v17, v11
	v_cndmask_b32_e64 v22, v20, v22, s1
	v_cmp_eq_u32_e64 s1, 0, v23
	s_waitcnt lgkmcnt(7)
	v_add_f32_e32 v8, v8, v26
	v_add_f32_e32 v18, v18, v25
	v_and_b32_e32 v34, 4, v0
	s_waitcnt lgkmcnt(5)
	v_add_f32_e32 v6, v6, v24
	v_cndmask_b32_e64 v9, -v9, v9, s1
	s_waitcnt lgkmcnt(4)
	v_add_f32_e32 v23, v5, v28
	ds_bpermute_b32 v24, v17, v19
	v_cndmask_b32_e64 v19, -v19, v19, s1
	v_lshlrev_b32_e32 v22, 2, v22
	s_waitcnt lgkmcnt(4)
	v_add_f32_e32 v5, v9, v29
	s_waitcnt lgkmcnt(3)
	v_add_f32_e32 v9, v3, v21
	ds_bpermute_b32 v21, v17, v10
	ds_bpermute_b32 v3, v17, v13
	v_cndmask_b32_e64 v10, -v10, v10, s1
	ds_bpermute_b32 v33, v17, v8
	ds_bpermute_b32 v25, v22, v5
	ds_bpermute_b32 v32, v17, v18
	v_xor_b32_e32 v38, 8, v20
	v_cndmask_b32_e64 v13, -v13, v13, s1
	v_cndmask_b32_e64 v16, -v16, v16, s2
	v_cmp_eq_u32_e64 s3, 0, v34
	v_cndmask_b32_e64 v4, -v4, v4, s1
	v_cmp_gt_i32_e64 s2, 32, v38
	v_cndmask_b32_e64 v8, -v8, v8, s1
	s_load_dword s5, s[4:5], 0x20
	v_cndmask_b32_e64 v5, -v5, v5, s3
	s_waitcnt lgkmcnt(0)
	v_add_f32_e32 v19, v19, v24
	v_and_b32_e32 v34, 8, v0
	v_cndmask_b32_e64 v38, v20, v38, s2
	v_cndmask_b32_e64 v18, -v18, v18, s1
	v_add_f32_e32 v4, v4, v30
	v_add_f32_e32 v10, v10, v21
	ds_bpermute_b32 v21, v22, v19
	v_add_f32_e32 v3, v13, v3
	v_xor_b32_e32 v13, 16, v20
	v_add_f32_e32 v8, v8, v33
	ds_bpermute_b32 v24, v22, v10
	v_cndmask_b32_e64 v10, -v10, v10, s3
	v_cndmask_b32_e64 v19, -v19, v19, s3
	v_cmp_gt_i32_e64 s4, 32, v13
	v_add_f32_e32 v5, v5, v25
	v_cmp_eq_u32_e64 s2, 0, v34
	v_lshlrev_b32_e32 v25, 2, v38
	ds_bpermute_b32 v34, v22, v3
	v_cndmask_b32_e64 v11, -v11, v11, s1
	v_cndmask_b32_e64 v13, v20, v13, s4
	v_add_f32_e32 v18, v18, v32
	ds_bpermute_b32 v20, v22, v8
	ds_bpermute_b32 v32, v22, v4
	v_add_f32_e32 v11, v11, v31
	v_cndmask_b32_e64 v3, -v3, v3, s3
	ds_bpermute_b32 v30, v22, v18
	s_waitcnt lgkmcnt(5)
	v_add_f32_e32 v19, v19, v21
	v_cndmask_b32_e64 v8, -v8, v8, s3
	ds_bpermute_b32 v31, v22, v11
	v_cndmask_b32_e64 v4, -v4, v4, s3
	s_waitcnt lgkmcnt(5)
	v_add_f32_e32 v10, v10, v24
	ds_bpermute_b32 v21, v25, v19
	v_add_f32_e32 v16, v16, v27
	ds_bpermute_b32 v26, v17, v12
	ds_bpermute_b32 v28, v17, v14
	;; [unrolled: 1-line block ×4, first 2 shown]
	s_waitcnt lgkmcnt(9)
	v_add_f32_e32 v3, v3, v34
	ds_bpermute_b32 v34, v25, v5
	v_cndmask_b32_e64 v18, -v18, v18, s3
	v_cndmask_b32_e64 v19, -v19, v19, s2
	s_waitcnt lgkmcnt(9)
	v_add_f32_e32 v8, v8, v20
	s_waitcnt lgkmcnt(8)
	v_add_f32_e32 v4, v4, v32
	v_cndmask_b32_e64 v10, -v10, v10, s2
	ds_bpermute_b32 v27, v17, v7
	ds_bpermute_b32 v35, v17, v16
	;; [unrolled: 1-line block ×5, first 2 shown]
	v_lshlrev_b32_e32 v13, 2, v13
	ds_bpermute_b32 v33, v25, v3
	v_cndmask_b32_e64 v11, -v11, v11, s3
	s_waitcnt lgkmcnt(13)
	v_add_f32_e32 v18, v18, v30
	ds_bpermute_b32 v20, v25, v8
	s_waitcnt lgkmcnt(12)
	v_add_f32_e32 v19, v19, v21
	s_waitcnt lgkmcnt(9)
	v_add_f32_e32 v10, v10, v24
	ds_bpermute_b32 v24, v25, v4
	v_add_f32_e32 v11, v11, v31
	ds_bpermute_b32 v30, v25, v18
	ds_bpermute_b32 v31, v13, v19
	v_and_b32_e32 v0, 16, v0
	v_cndmask_b32_e64 v5, -v5, v5, s2
	v_cndmask_b32_e64 v15, -v15, v15, s1
	;; [unrolled: 1-line block ×4, first 2 shown]
	s_mul_i32 s4, s14, s7
	s_mul_hi_u32 s7, s14, s6
	v_cndmask_b32_e64 v3, -v3, v3, s2
	s_add_i32 s7, s7, s4
	s_waitcnt lgkmcnt(10)
	v_add_f32_e32 v5, v5, v34
	v_cmp_eq_u32_e64 s4, 0, v0
	v_cndmask_b32_e64 v0, -v8, v8, s2
	v_cndmask_b32_e64 v4, -v4, v4, s2
	;; [unrolled: 1-line block ×3, first 2 shown]
	v_add_f32_e32 v15, v15, v29
	v_add_f32_e32 v14, v14, v28
	;; [unrolled: 1-line block ×3, first 2 shown]
	v_cndmask_b32_e64 v23, -v23, v23, s1
	v_cndmask_b32_e64 v9, -v9, v9, s1
	;; [unrolled: 1-line block ×4, first 2 shown]
	s_waitcnt lgkmcnt(4)
	v_add_f32_e32 v3, v3, v33
	ds_bpermute_b32 v34, v13, v5
	v_cndmask_b32_e64 v8, -v18, v18, s2
	s_waitcnt lgkmcnt(4)
	v_add_f32_e32 v18, v0, v20
	v_cndmask_b32_e64 v0, -v5, v5, s4
	v_cndmask_b32_e64 v5, -v19, v19, s4
	s_waitcnt lgkmcnt(3)
	v_add_f32_e32 v20, v4, v24
	v_add_f32_e32 v7, v7, v27
	ds_bpermute_b32 v24, v22, v15
	ds_bpermute_b32 v26, v22, v14
	;; [unrolled: 1-line block ×3, first 2 shown]
	v_add_f32_e32 v9, v9, v17
	v_add_f32_e32 v17, v23, v37
	;; [unrolled: 1-line block ×4, first 2 shown]
	ds_bpermute_b32 v33, v13, v3
	s_waitcnt lgkmcnt(6)
	v_add_f32_e32 v8, v8, v30
	v_cndmask_b32_e64 v19, -v3, v3, s4
	s_waitcnt lgkmcnt(5)
	v_add_f32_e32 v3, v5, v31
	ds_bpermute_b32 v27, v22, v7
	ds_bpermute_b32 v23, v22, v9
	;; [unrolled: 1-line block ×6, first 2 shown]
	v_cndmask_b32_e64 v14, -v14, v14, s3
	v_cndmask_b32_e64 v15, -v15, v15, s3
	;; [unrolled: 1-line block ×5, first 2 shown]
	s_waitcnt lgkmcnt(8)
	v_add_f32_e32 v14, v14, v26
	v_add_f32_e32 v15, v15, v24
	s_waitcnt lgkmcnt(7)
	v_add_f32_e32 v12, v12, v28
	v_cndmask_b32_e64 v17, -v17, v17, s3
	v_cndmask_b32_e64 v9, -v9, v9, s3
	;; [unrolled: 1-line block ×4, first 2 shown]
	ds_bpermute_b32 v24, v25, v15
	ds_bpermute_b32 v26, v25, v14
	s_waitcnt lgkmcnt(7)
	v_add_f32_e32 v7, v7, v27
	ds_bpermute_b32 v28, v25, v12
	s_waitcnt lgkmcnt(7)
	v_add_f32_e32 v9, v9, v23
	s_waitcnt lgkmcnt(6)
	v_add_f32_e32 v17, v17, v30
	;; [unrolled: 2-line block ×5, first 2 shown]
	ds_bpermute_b32 v21, v13, v8
	ds_bpermute_b32 v27, v25, v7
	v_cndmask_b32_e64 v22, -v8, v8, s4
	ds_bpermute_b32 v8, v25, v9
	ds_bpermute_b32 v23, v25, v17
	;; [unrolled: 1-line block ×5, first 2 shown]
	v_cndmask_b32_e64 v15, -v15, v15, s2
	v_cndmask_b32_e64 v14, -v14, v14, s2
	;; [unrolled: 1-line block ×3, first 2 shown]
	v_add_f32_e32 v5, v19, v33
	ds_bpermute_b32 v19, v13, v11
	v_cndmask_b32_e64 v7, -v7, v7, s2
	s_waitcnt lgkmcnt(10)
	v_add_f32_e32 v15, v15, v24
	s_waitcnt lgkmcnt(9)
	v_add_f32_e32 v14, v14, v26
	;; [unrolled: 2-line block ×3, first 2 shown]
	v_cndmask_b32_e64 v12, -v16, v16, s2
	v_cndmask_b32_e64 v6, -v6, v6, s2
	;; [unrolled: 1-line block ×5, first 2 shown]
	ds_bpermute_b32 v29, v13, v18
	s_waitcnt lgkmcnt(7)
	v_add_f32_e32 v7, v7, v27
	ds_bpermute_b32 v17, v13, v15
	ds_bpermute_b32 v26, v13, v14
	s_waitcnt lgkmcnt(8)
	v_add_f32_e32 v28, v9, v8
	s_waitcnt lgkmcnt(7)
	v_add_f32_e32 v16, v16, v23
	;; [unrolled: 2-line block ×5, first 2 shown]
	v_add_f32_e32 v0, v0, v34
	ds_bpermute_b32 v10, v13, v20
	ds_bpermute_b32 v27, v13, v7
	ds_bpermute_b32 v30, v13, v24
	ds_bpermute_b32 v31, v13, v28
	ds_bpermute_b32 v32, v13, v16
	ds_bpermute_b32 v33, v13, v23
	ds_bpermute_b32 v34, v13, v25
	v_cndmask_b32_e64 v11, -v11, v11, s4
	v_cndmask_b32_e64 v18, -v18, v18, s4
	;; [unrolled: 1-line block ×5, first 2 shown]
	s_waitcnt lgkmcnt(10)
	v_add_f32_e32 v12, v11, v19
	v_cndmask_b32_e64 v11, -v15, v15, s4
	s_waitcnt lgkmcnt(9)
	v_add_f32_e32 v8, v18, v29
	v_cndmask_b32_e64 v15, -v24, v24, s4
	v_cndmask_b32_e64 v16, -v16, v16, s4
	v_cndmask_b32_e64 v18, -v25, v25, s4
	s_waitcnt lgkmcnt(8)
	v_add_f32_e32 v7, v11, v17
	s_waitcnt lgkmcnt(7)
	v_add_f32_e32 v11, v13, v26
	v_cndmask_b32_e64 v13, -v28, v28, s4
	v_cndmask_b32_e64 v17, -v23, v23, s4
	s_mul_i32 s8, s15, s6
	s_mul_i32 s6, s14, s6
	s_add_i32 s7, s7, s8
	v_add_f32_e32 v9, v22, v21
	s_lshl_b64 s[6:7], s[6:7], 1
	s_waitcnt lgkmcnt(6)
	v_add_f32_e32 v6, v20, v10
	s_waitcnt lgkmcnt(5)
	v_add_f32_e32 v10, v14, v27
	;; [unrolled: 2-line block ×7, first 2 shown]
	s_add_u32 s2, s10, s6
	s_addc_u32 s3, s11, s7
	s_and_saveexec_b32 s1, vcc_lo
	s_cbranch_execnz .LBB19_7
; %bb.5:
	s_or_b32 exec_lo, exec_lo, s1
	s_and_saveexec_b32 s1, s0
	s_cbranch_execnz .LBB19_8
.LBB19_6:
	s_endpgm
.LBB19_7:
	v_add_f32_e32 v18, v11, v16
	v_add_f32_e32 v19, v14, v17
	;; [unrolled: 1-line block ×8, first 2 shown]
	v_fma_mixlo_f16 v21, s5, v18, 0
	v_fma_mixlo_f16 v20, s5, v19, 0
	;; [unrolled: 1-line block ×4, first 2 shown]
	v_fma_mixhi_f16 v21, s5, v22, 0
	v_fma_mixhi_f16 v20, s5, v23, 0
	;; [unrolled: 1-line block ×4, first 2 shown]
	global_store_dwordx4 v1, v[18:21], s[2:3]
	s_or_b32 exec_lo, exec_lo, s1
	s_and_saveexec_b32 s1, s0
	s_cbranch_execz .LBB19_6
.LBB19_8:
	v_sub_f32_e32 v1, v5, v12
	v_sub_f32_e32 v8, v3, v8
	v_sub_f32_e32 v3, v4, v9
	v_sub_f32_e32 v4, v11, v16
	v_sub_f32_e32 v5, v14, v17
	v_sub_f32_e32 v0, v0, v6
	v_sub_f32_e32 v9, v10, v15
	v_sub_f32_e32 v7, v7, v13
	v_fma_mixlo_f16 v6, s5, v4, 0
	v_fma_mixlo_f16 v5, s5, v5, 0
	;; [unrolled: 1-line block ×4, first 2 shown]
	v_fma_mixhi_f16 v6, s5, v7, 0
	v_fma_mixhi_f16 v5, s5, v9, 0
	;; [unrolled: 1-line block ×4, first 2 shown]
	global_store_dwordx4 v2, v[3:6], s[2:3]
	s_endpgm
	.section	.rodata,"a",@progbits
	.p2align	6, 0x0
	.amdhsa_kernel _Z30fast_hadamard_transform_kernelI37fast_hadamard_transform_kernel_traitsILi32ELi9E6__halfEEv18HadamardParamsBase
		.amdhsa_group_segment_fixed_size 0
		.amdhsa_private_segment_fixed_size 0
		.amdhsa_kernarg_size 312
		.amdhsa_user_sgpr_count 6
		.amdhsa_user_sgpr_private_segment_buffer 1
		.amdhsa_user_sgpr_dispatch_ptr 0
		.amdhsa_user_sgpr_queue_ptr 0
		.amdhsa_user_sgpr_kernarg_segment_ptr 1
		.amdhsa_user_sgpr_dispatch_id 0
		.amdhsa_user_sgpr_flat_scratch_init 0
		.amdhsa_user_sgpr_private_segment_size 0
		.amdhsa_wavefront_size32 1
		.amdhsa_uses_dynamic_stack 0
		.amdhsa_system_sgpr_private_segment_wavefront_offset 0
		.amdhsa_system_sgpr_workgroup_id_x 1
		.amdhsa_system_sgpr_workgroup_id_y 0
		.amdhsa_system_sgpr_workgroup_id_z 0
		.amdhsa_system_sgpr_workgroup_info 0
		.amdhsa_system_vgpr_workitem_id 0
		.amdhsa_next_free_vgpr 39
		.amdhsa_next_free_sgpr 16
		.amdhsa_reserve_vcc 1
		.amdhsa_reserve_flat_scratch 0
		.amdhsa_float_round_mode_32 0
		.amdhsa_float_round_mode_16_64 0
		.amdhsa_float_denorm_mode_32 3
		.amdhsa_float_denorm_mode_16_64 3
		.amdhsa_dx10_clamp 1
		.amdhsa_ieee_mode 1
		.amdhsa_fp16_overflow 0
		.amdhsa_workgroup_processor_mode 1
		.amdhsa_memory_ordered 1
		.amdhsa_forward_progress 1
		.amdhsa_shared_vgpr_count 0
		.amdhsa_exception_fp_ieee_invalid_op 0
		.amdhsa_exception_fp_denorm_src 0
		.amdhsa_exception_fp_ieee_div_zero 0
		.amdhsa_exception_fp_ieee_overflow 0
		.amdhsa_exception_fp_ieee_underflow 0
		.amdhsa_exception_fp_ieee_inexact 0
		.amdhsa_exception_int_div_zero 0
	.end_amdhsa_kernel
	.section	.text._Z30fast_hadamard_transform_kernelI37fast_hadamard_transform_kernel_traitsILi32ELi9E6__halfEEv18HadamardParamsBase,"axG",@progbits,_Z30fast_hadamard_transform_kernelI37fast_hadamard_transform_kernel_traitsILi32ELi9E6__halfEEv18HadamardParamsBase,comdat
.Lfunc_end19:
	.size	_Z30fast_hadamard_transform_kernelI37fast_hadamard_transform_kernel_traitsILi32ELi9E6__halfEEv18HadamardParamsBase, .Lfunc_end19-_Z30fast_hadamard_transform_kernelI37fast_hadamard_transform_kernel_traitsILi32ELi9E6__halfEEv18HadamardParamsBase
                                        ; -- End function
	.set _Z30fast_hadamard_transform_kernelI37fast_hadamard_transform_kernel_traitsILi32ELi9E6__halfEEv18HadamardParamsBase.num_vgpr, 39
	.set _Z30fast_hadamard_transform_kernelI37fast_hadamard_transform_kernel_traitsILi32ELi9E6__halfEEv18HadamardParamsBase.num_agpr, 0
	.set _Z30fast_hadamard_transform_kernelI37fast_hadamard_transform_kernel_traitsILi32ELi9E6__halfEEv18HadamardParamsBase.numbered_sgpr, 16
	.set _Z30fast_hadamard_transform_kernelI37fast_hadamard_transform_kernel_traitsILi32ELi9E6__halfEEv18HadamardParamsBase.num_named_barrier, 0
	.set _Z30fast_hadamard_transform_kernelI37fast_hadamard_transform_kernel_traitsILi32ELi9E6__halfEEv18HadamardParamsBase.private_seg_size, 0
	.set _Z30fast_hadamard_transform_kernelI37fast_hadamard_transform_kernel_traitsILi32ELi9E6__halfEEv18HadamardParamsBase.uses_vcc, 1
	.set _Z30fast_hadamard_transform_kernelI37fast_hadamard_transform_kernel_traitsILi32ELi9E6__halfEEv18HadamardParamsBase.uses_flat_scratch, 0
	.set _Z30fast_hadamard_transform_kernelI37fast_hadamard_transform_kernel_traitsILi32ELi9E6__halfEEv18HadamardParamsBase.has_dyn_sized_stack, 0
	.set _Z30fast_hadamard_transform_kernelI37fast_hadamard_transform_kernel_traitsILi32ELi9E6__halfEEv18HadamardParamsBase.has_recursion, 0
	.set _Z30fast_hadamard_transform_kernelI37fast_hadamard_transform_kernel_traitsILi32ELi9E6__halfEEv18HadamardParamsBase.has_indirect_call, 0
	.section	.AMDGPU.csdata,"",@progbits
; Kernel info:
; codeLenInByte = 2832
; TotalNumSgprs: 18
; NumVgprs: 39
; ScratchSize: 0
; MemoryBound: 0
; FloatMode: 240
; IeeeMode: 1
; LDSByteSize: 0 bytes/workgroup (compile time only)
; SGPRBlocks: 0
; VGPRBlocks: 4
; NumSGPRsForWavesPerEU: 18
; NumVGPRsForWavesPerEU: 39
; Occupancy: 16
; WaveLimiterHint : 0
; COMPUTE_PGM_RSRC2:SCRATCH_EN: 0
; COMPUTE_PGM_RSRC2:USER_SGPR: 6
; COMPUTE_PGM_RSRC2:TRAP_HANDLER: 0
; COMPUTE_PGM_RSRC2:TGID_X_EN: 1
; COMPUTE_PGM_RSRC2:TGID_Y_EN: 0
; COMPUTE_PGM_RSRC2:TGID_Z_EN: 0
; COMPUTE_PGM_RSRC2:TIDIG_COMP_CNT: 0
	.section	.text._Z30fast_hadamard_transform_kernelI37fast_hadamard_transform_kernel_traitsILi128ELi10E6__halfEEv18HadamardParamsBase,"axG",@progbits,_Z30fast_hadamard_transform_kernelI37fast_hadamard_transform_kernel_traitsILi128ELi10E6__halfEEv18HadamardParamsBase,comdat
	.protected	_Z30fast_hadamard_transform_kernelI37fast_hadamard_transform_kernel_traitsILi128ELi10E6__halfEEv18HadamardParamsBase ; -- Begin function _Z30fast_hadamard_transform_kernelI37fast_hadamard_transform_kernel_traitsILi128ELi10E6__halfEEv18HadamardParamsBase
	.globl	_Z30fast_hadamard_transform_kernelI37fast_hadamard_transform_kernel_traitsILi128ELi10E6__halfEEv18HadamardParamsBase
	.p2align	8
	.type	_Z30fast_hadamard_transform_kernelI37fast_hadamard_transform_kernel_traitsILi128ELi10E6__halfEEv18HadamardParamsBase,@function
_Z30fast_hadamard_transform_kernelI37fast_hadamard_transform_kernel_traitsILi128ELi10E6__halfEEv18HadamardParamsBase: ; @_Z30fast_hadamard_transform_kernelI37fast_hadamard_transform_kernel_traitsILi128ELi10E6__halfEEv18HadamardParamsBase
; %bb.0:
	s_load_dword s0, s[4:5], 0x4
	v_lshlrev_b32_e32 v9, 3, v0
	v_mov_b32_e32 v2, 0
	v_mov_b32_e32 v3, 0
	;; [unrolled: 1-line block ×7, first 2 shown]
	v_lshlrev_b32_e32 v1, 4, v0
	s_ashr_i32 s7, s6, 31
	s_waitcnt lgkmcnt(0)
	v_cmp_gt_u32_e32 vcc_lo, s0, v9
	v_mov_b32_e32 v9, 0
	s_and_saveexec_b32 s0, vcc_lo
	s_cbranch_execz .LBB20_2
; %bb.1:
	s_clause 0x1
	s_load_dwordx2 s[2:3], s[4:5], 0x10
	s_load_dwordx2 s[8:9], s[4:5], 0x28
	s_waitcnt lgkmcnt(0)
	s_mul_i32 s1, s2, s7
	s_mul_hi_u32 s10, s2, s6
	s_mul_i32 s3, s3, s6
	s_add_i32 s1, s10, s1
	s_mul_i32 s2, s2, s6
	s_add_i32 s3, s1, s3
	s_lshl_b64 s[2:3], s[2:3], 1
	s_add_u32 s2, s8, s2
	s_addc_u32 s3, s9, s3
	global_load_dwordx4 v[10:13], v1, s[2:3]
	s_waitcnt vmcnt(0)
	v_cvt_f32_f16_e32 v9, v10
	v_cvt_f32_f16_sdwa v8, v10 dst_sel:DWORD dst_unused:UNUSED_PAD src0_sel:WORD_1
	v_cvt_f32_f16_e32 v7, v11
	v_cvt_f32_f16_sdwa v6, v11 dst_sel:DWORD dst_unused:UNUSED_PAD src0_sel:WORD_1
	;; [unrolled: 2-line block ×4, first 2 shown]
.LBB20_2:
	s_or_b32 exec_lo, exec_lo, s0
	v_mbcnt_lo_u32_b32 v11, -1, 0
	v_add_f32_e32 v10, v8, v9
	v_sub_f32_e32 v8, v9, v8
	v_add_f32_e32 v9, v6, v7
	v_sub_f32_e32 v6, v7, v6
	v_xor_b32_e32 v12, 1, v11
	v_add_f32_e32 v7, v4, v5
	v_sub_f32_e32 v4, v5, v4
	v_add_f32_e32 v5, v2, v3
	v_sub_f32_e32 v2, v3, v2
	v_cmp_gt_i32_e64 s0, 32, v12
	v_add_f32_e32 v3, v9, v10
	v_sub_f32_e32 v9, v10, v9
	v_add_f32_e32 v14, v5, v7
	v_add_f32_e32 v13, v6, v8
	v_cndmask_b32_e64 v12, v11, v12, s0
	v_add_f32_e32 v15, v2, v4
	v_sub_f32_e32 v2, v4, v2
	v_add_f32_e32 v10, v14, v3
	v_sub_f32_e32 v6, v8, v6
	v_lshlrev_b32_e32 v12, 2, v12
	v_add_f32_e32 v16, v15, v13
	v_sub_f32_e32 v5, v7, v5
	v_and_b32_e32 v8, 1, v0
	v_xor_b32_e32 v20, 2, v11
	ds_bpermute_b32 v4, v12, v10
	ds_bpermute_b32 v7, v12, v16
	v_add_f32_e32 v17, v5, v9
	v_add_f32_e32 v18, v2, v6
	v_sub_f32_e32 v3, v3, v14
	v_cmp_eq_u32_e64 s0, 0, v8
	v_cmp_gt_i32_e64 s1, 32, v20
	v_sub_f32_e32 v13, v13, v15
	ds_bpermute_b32 v8, v12, v17
	ds_bpermute_b32 v14, v12, v18
	ds_bpermute_b32 v15, v12, v3
	v_sub_f32_e32 v5, v9, v5
	v_cndmask_b32_e64 v9, -v10, v10, s0
	v_sub_f32_e32 v2, v6, v2
	v_cndmask_b32_e64 v6, v11, v20, s1
	ds_bpermute_b32 v19, v12, v13
	v_cndmask_b32_e64 v10, -v16, v16, s0
	v_cndmask_b32_e64 v3, -v3, v3, s0
	;; [unrolled: 1-line block ×3, first 2 shown]
	v_lshlrev_b32_e32 v16, 2, v6
	s_waitcnt lgkmcnt(5)
	v_add_f32_e32 v4, v9, v4
	v_cndmask_b32_e64 v9, -v17, v17, s0
	ds_bpermute_b32 v6, v12, v5
	ds_bpermute_b32 v17, v12, v2
	s_waitcnt lgkmcnt(6)
	v_add_f32_e32 v7, v10, v7
	v_cndmask_b32_e64 v10, -v18, v18, s0
	ds_bpermute_b32 v18, v16, v4
	v_cndmask_b32_e64 v5, -v5, v5, s0
	s_waitcnt lgkmcnt(6)
	v_add_f32_e32 v8, v9, v8
	v_cndmask_b32_e64 v2, -v2, v2, s0
	s_waitcnt lgkmcnt(5)
	v_add_f32_e32 v9, v10, v14
	s_waitcnt lgkmcnt(4)
	v_add_f32_e32 v3, v3, v15
	ds_bpermute_b32 v14, v16, v7
	ds_bpermute_b32 v15, v16, v8
	v_xor_b32_e32 v22, 4, v11
	s_waitcnt lgkmcnt(5)
	v_add_f32_e32 v10, v13, v19
	v_and_b32_e32 v13, 2, v0
	ds_bpermute_b32 v19, v16, v9
	ds_bpermute_b32 v20, v16, v3
	v_cmp_gt_i32_e64 s2, 32, v22
	ds_bpermute_b32 v21, v16, v10
	v_cmp_eq_u32_e64 s1, 0, v13
	s_waitcnt lgkmcnt(7)
	v_add_f32_e32 v5, v5, v6
	s_waitcnt lgkmcnt(6)
	v_add_f32_e32 v2, v2, v17
	v_cndmask_b32_e64 v6, v11, v22, s2
	v_xor_b32_e32 v22, 8, v11
	v_cndmask_b32_e64 v4, -v4, v4, s1
	ds_bpermute_b32 v13, v16, v5
	ds_bpermute_b32 v17, v16, v2
	v_cndmask_b32_e64 v7, -v7, v7, s1
	v_cndmask_b32_e64 v8, -v8, v8, s1
	s_waitcnt lgkmcnt(7)
	v_add_f32_e32 v4, v4, v18
	v_cndmask_b32_e64 v9, -v9, v9, s1
	v_lshlrev_b32_e32 v6, 2, v6
	v_cndmask_b32_e64 v3, -v3, v3, s1
	s_waitcnt lgkmcnt(6)
	v_add_f32_e32 v7, v7, v14
	v_cndmask_b32_e64 v10, -v10, v10, s1
	s_waitcnt lgkmcnt(5)
	v_add_f32_e32 v8, v8, v15
	ds_bpermute_b32 v18, v6, v4
	s_waitcnt lgkmcnt(5)
	v_add_f32_e32 v9, v9, v19
	s_waitcnt lgkmcnt(4)
	v_add_f32_e32 v3, v3, v20
	v_cndmask_b32_e64 v5, -v5, v5, s1
	v_cndmask_b32_e64 v2, -v2, v2, s1
	ds_bpermute_b32 v15, v6, v7
	s_waitcnt lgkmcnt(4)
	v_add_f32_e32 v10, v10, v21
	v_and_b32_e32 v14, 4, v0
	ds_bpermute_b32 v19, v6, v8
	ds_bpermute_b32 v20, v6, v9
	ds_bpermute_b32 v21, v6, v3
	s_waitcnt lgkmcnt(6)
	v_add_f32_e32 v5, v5, v13
	s_waitcnt lgkmcnt(5)
	v_add_f32_e32 v2, v2, v17
	v_cmp_eq_u32_e64 s2, 0, v14
	v_cmp_gt_i32_e64 s3, 32, v22
	ds_bpermute_b32 v14, v6, v10
	ds_bpermute_b32 v17, v6, v5
	;; [unrolled: 1-line block ×3, first 2 shown]
	v_cndmask_b32_e64 v4, -v4, v4, s2
	v_cndmask_b32_e64 v13, v11, v22, s3
	v_cndmask_b32_e64 v7, -v7, v7, s2
	v_cndmask_b32_e64 v8, -v8, v8, s2
	;; [unrolled: 1-line block ×3, first 2 shown]
	s_waitcnt lgkmcnt(7)
	v_add_f32_e32 v4, v4, v18
	v_lshlrev_b32_e32 v13, 2, v13
	v_cndmask_b32_e64 v3, -v3, v3, s2
	s_waitcnt lgkmcnt(6)
	v_add_f32_e32 v7, v7, v15
	v_and_b32_e32 v15, 8, v0
	s_waitcnt lgkmcnt(5)
	v_add_f32_e32 v8, v8, v19
	ds_bpermute_b32 v18, v13, v4
	s_waitcnt lgkmcnt(5)
	v_add_f32_e32 v9, v9, v20
	s_waitcnt lgkmcnt(4)
	v_add_f32_e32 v3, v3, v21
	v_cndmask_b32_e64 v10, -v10, v10, s2
	v_cndmask_b32_e64 v5, -v5, v5, s2
	;; [unrolled: 1-line block ×3, first 2 shown]
	v_cmp_eq_u32_e64 s2, 0, v15
	ds_bpermute_b32 v19, v13, v7
	ds_bpermute_b32 v20, v13, v8
	;; [unrolled: 1-line block ×4, first 2 shown]
	s_waitcnt lgkmcnt(7)
	v_add_f32_e32 v10, v10, v14
	s_waitcnt lgkmcnt(6)
	v_add_f32_e32 v5, v5, v17
	;; [unrolled: 2-line block ×3, first 2 shown]
	v_cndmask_b32_e64 v6, -v7, v7, s2
	v_xor_b32_e32 v7, 16, v11
	ds_bpermute_b32 v14, v13, v10
	ds_bpermute_b32 v17, v13, v5
	v_cndmask_b32_e64 v4, -v4, v4, s2
	ds_bpermute_b32 v13, v13, v2
	v_cmp_gt_i32_e64 s3, 32, v7
	v_cndmask_b32_e64 v8, -v8, v8, s2
	v_cndmask_b32_e64 v9, -v9, v9, s2
	s_waitcnt lgkmcnt(7)
	v_add_f32_e32 v4, v4, v18
	v_cndmask_b32_e64 v3, -v3, v3, s2
	v_cndmask_b32_e64 v7, v11, v7, s3
	v_cndmask_b32_e64 v10, -v10, v10, s2
	s_waitcnt lgkmcnt(6)
	v_add_f32_e32 v6, v6, v19
	s_waitcnt lgkmcnt(5)
	v_add_f32_e32 v8, v8, v20
	;; [unrolled: 2-line block ×3, first 2 shown]
	v_lshlrev_b32_e32 v7, 2, v7
	s_waitcnt lgkmcnt(3)
	v_add_f32_e32 v3, v3, v21
	v_cndmask_b32_e64 v5, -v5, v5, s2
	v_cndmask_b32_e64 v2, -v2, v2, s2
	v_and_b32_e32 v21, 16, v0
	ds_bpermute_b32 v11, v7, v4
	ds_bpermute_b32 v15, v7, v6
	;; [unrolled: 1-line block ×5, first 2 shown]
	s_waitcnt lgkmcnt(7)
	v_add_f32_e32 v10, v10, v14
	s_waitcnt lgkmcnt(6)
	v_add_f32_e32 v14, v5, v17
	;; [unrolled: 2-line block ×3, first 2 shown]
	v_cmp_eq_u32_e64 s2, 0, v21
	s_waitcnt lgkmcnt(0)
	ds_bpermute_b32 v17, v7, v10
	ds_bpermute_b32 v21, v7, v14
	;; [unrolled: 1-line block ×3, first 2 shown]
	v_cndmask_b32_e64 v2, -v4, v4, s2
	v_cndmask_b32_e64 v4, -v6, v6, s2
	;; [unrolled: 1-line block ×5, first 2 shown]
	v_lshrrev_b32_e32 v8, 2, v0
	v_cndmask_b32_e64 v9, -v10, v10, s2
	v_add_f32_e32 v2, v2, v11
	v_and_b32_e32 v11, 3, v0
	v_add_f32_e32 v3, v4, v15
	v_add_f32_e32 v4, v5, v18
	;; [unrolled: 1-line block ×4, first 2 shown]
	v_lshrrev_b32_e32 v7, 5, v0
	v_cndmask_b32_e64 v10, -v14, v14, s2
	v_lshl_or_b32 v14, v11, 5, v8
	v_cndmask_b32_e64 v13, -v13, v13, s2
	s_barrier
	v_xor_b32_e32 v0, v7, v0
	s_waitcnt lgkmcnt(1)
	v_add_f32_e32 v8, v10, v21
	v_xor_b32_e32 v10, v14, v11
	v_add_f32_e32 v7, v9, v17
	s_waitcnt lgkmcnt(0)
	v_add_f32_e32 v9, v13, v22
	v_lshl_add_u32 v0, v0, 4, 0
	buffer_gl0_inv
	v_lshl_add_u32 v10, v10, 4, 0
	ds_write_b128 v0, v[2:5]
	ds_write_b128 v0, v[6:9] offset:2048
	s_waitcnt lgkmcnt(0)
	s_barrier
	buffer_gl0_inv
	ds_read_b128 v[2:5], v10
	ds_read_b128 v[6:9], v10 offset:2048
	s_waitcnt lgkmcnt(0)
	s_barrier
	buffer_gl0_inv
	ds_bpermute_b32 v11, v12, v2
	ds_bpermute_b32 v13, v12, v3
	;; [unrolled: 1-line block ×8, first 2 shown]
	v_cndmask_b32_e64 v2, -v2, v2, s0
	v_cndmask_b32_e64 v3, -v3, v3, s0
	;; [unrolled: 1-line block ×8, first 2 shown]
	s_waitcnt lgkmcnt(7)
	v_add_f32_e32 v2, v2, v11
	s_waitcnt lgkmcnt(6)
	v_add_f32_e32 v3, v3, v13
	;; [unrolled: 2-line block ×8, first 2 shown]
	ds_bpermute_b32 v11, v16, v2
	ds_bpermute_b32 v13, v16, v3
	;; [unrolled: 1-line block ×8, first 2 shown]
	v_cndmask_b32_e64 v2, -v2, v2, s1
	v_cndmask_b32_e64 v3, -v3, v3, s1
	;; [unrolled: 1-line block ×8, first 2 shown]
	s_waitcnt lgkmcnt(7)
	v_add_f32_e32 v2, v2, v11
	s_waitcnt lgkmcnt(6)
	v_add_f32_e32 v3, v3, v13
	;; [unrolled: 2-line block ×8, first 2 shown]
	ds_write_b128 v10, v[2:5]
	ds_write_b128 v10, v[6:9] offset:2048
	s_waitcnt lgkmcnt(0)
	s_barrier
	buffer_gl0_inv
	s_and_saveexec_b32 s0, vcc_lo
	s_cbranch_execz .LBB20_4
; %bb.3:
	s_clause 0x1
	s_load_dwordx2 s[0:1], s[4:5], 0x18
	s_load_dword s8, s[4:5], 0x20
	ds_read_b128 v[2:5], v0 offset:2048
	ds_read_b128 v[6:9], v0
	s_load_dwordx2 s[2:3], s[4:5], 0x30
	s_waitcnt lgkmcnt(0)
	s_mul_i32 s4, s0, s7
	s_mul_hi_u32 s5, s0, s6
	v_fma_mixlo_f16 v13, s8, v4, 0
	v_fma_mixlo_f16 v12, s8, v2, 0
	;; [unrolled: 1-line block ×4, first 2 shown]
	s_mul_i32 s1, s1, s6
	s_add_i32 s4, s5, s4
	s_mul_i32 s0, s0, s6
	s_add_i32 s1, s4, s1
	v_fma_mixhi_f16 v13, s8, v5, 0
	v_fma_mixhi_f16 v12, s8, v3, 0
	;; [unrolled: 1-line block ×3, first 2 shown]
	s_lshl_b64 s[0:1], s[0:1], 1
	v_fma_mixhi_f16 v10, s8, v7, 0
	s_add_u32 s0, s2, s0
	s_addc_u32 s1, s3, s1
	global_store_dwordx4 v1, v[10:13], s[0:1]
.LBB20_4:
	s_endpgm
	.section	.rodata,"a",@progbits
	.p2align	6, 0x0
	.amdhsa_kernel _Z30fast_hadamard_transform_kernelI37fast_hadamard_transform_kernel_traitsILi128ELi10E6__halfEEv18HadamardParamsBase
		.amdhsa_group_segment_fixed_size 0
		.amdhsa_private_segment_fixed_size 0
		.amdhsa_kernarg_size 56
		.amdhsa_user_sgpr_count 6
		.amdhsa_user_sgpr_private_segment_buffer 1
		.amdhsa_user_sgpr_dispatch_ptr 0
		.amdhsa_user_sgpr_queue_ptr 0
		.amdhsa_user_sgpr_kernarg_segment_ptr 1
		.amdhsa_user_sgpr_dispatch_id 0
		.amdhsa_user_sgpr_flat_scratch_init 0
		.amdhsa_user_sgpr_private_segment_size 0
		.amdhsa_wavefront_size32 1
		.amdhsa_uses_dynamic_stack 0
		.amdhsa_system_sgpr_private_segment_wavefront_offset 0
		.amdhsa_system_sgpr_workgroup_id_x 1
		.amdhsa_system_sgpr_workgroup_id_y 0
		.amdhsa_system_sgpr_workgroup_id_z 0
		.amdhsa_system_sgpr_workgroup_info 0
		.amdhsa_system_vgpr_workitem_id 0
		.amdhsa_next_free_vgpr 23
		.amdhsa_next_free_sgpr 11
		.amdhsa_reserve_vcc 1
		.amdhsa_reserve_flat_scratch 0
		.amdhsa_float_round_mode_32 0
		.amdhsa_float_round_mode_16_64 0
		.amdhsa_float_denorm_mode_32 3
		.amdhsa_float_denorm_mode_16_64 3
		.amdhsa_dx10_clamp 1
		.amdhsa_ieee_mode 1
		.amdhsa_fp16_overflow 0
		.amdhsa_workgroup_processor_mode 1
		.amdhsa_memory_ordered 1
		.amdhsa_forward_progress 1
		.amdhsa_shared_vgpr_count 0
		.amdhsa_exception_fp_ieee_invalid_op 0
		.amdhsa_exception_fp_denorm_src 0
		.amdhsa_exception_fp_ieee_div_zero 0
		.amdhsa_exception_fp_ieee_overflow 0
		.amdhsa_exception_fp_ieee_underflow 0
		.amdhsa_exception_fp_ieee_inexact 0
		.amdhsa_exception_int_div_zero 0
	.end_amdhsa_kernel
	.section	.text._Z30fast_hadamard_transform_kernelI37fast_hadamard_transform_kernel_traitsILi128ELi10E6__halfEEv18HadamardParamsBase,"axG",@progbits,_Z30fast_hadamard_transform_kernelI37fast_hadamard_transform_kernel_traitsILi128ELi10E6__halfEEv18HadamardParamsBase,comdat
.Lfunc_end20:
	.size	_Z30fast_hadamard_transform_kernelI37fast_hadamard_transform_kernel_traitsILi128ELi10E6__halfEEv18HadamardParamsBase, .Lfunc_end20-_Z30fast_hadamard_transform_kernelI37fast_hadamard_transform_kernel_traitsILi128ELi10E6__halfEEv18HadamardParamsBase
                                        ; -- End function
	.set _Z30fast_hadamard_transform_kernelI37fast_hadamard_transform_kernel_traitsILi128ELi10E6__halfEEv18HadamardParamsBase.num_vgpr, 23
	.set _Z30fast_hadamard_transform_kernelI37fast_hadamard_transform_kernel_traitsILi128ELi10E6__halfEEv18HadamardParamsBase.num_agpr, 0
	.set _Z30fast_hadamard_transform_kernelI37fast_hadamard_transform_kernel_traitsILi128ELi10E6__halfEEv18HadamardParamsBase.numbered_sgpr, 11
	.set _Z30fast_hadamard_transform_kernelI37fast_hadamard_transform_kernel_traitsILi128ELi10E6__halfEEv18HadamardParamsBase.num_named_barrier, 0
	.set _Z30fast_hadamard_transform_kernelI37fast_hadamard_transform_kernel_traitsILi128ELi10E6__halfEEv18HadamardParamsBase.private_seg_size, 0
	.set _Z30fast_hadamard_transform_kernelI37fast_hadamard_transform_kernel_traitsILi128ELi10E6__halfEEv18HadamardParamsBase.uses_vcc, 1
	.set _Z30fast_hadamard_transform_kernelI37fast_hadamard_transform_kernel_traitsILi128ELi10E6__halfEEv18HadamardParamsBase.uses_flat_scratch, 0
	.set _Z30fast_hadamard_transform_kernelI37fast_hadamard_transform_kernel_traitsILi128ELi10E6__halfEEv18HadamardParamsBase.has_dyn_sized_stack, 0
	.set _Z30fast_hadamard_transform_kernelI37fast_hadamard_transform_kernel_traitsILi128ELi10E6__halfEEv18HadamardParamsBase.has_recursion, 0
	.set _Z30fast_hadamard_transform_kernelI37fast_hadamard_transform_kernel_traitsILi128ELi10E6__halfEEv18HadamardParamsBase.has_indirect_call, 0
	.section	.AMDGPU.csdata,"",@progbits
; Kernel info:
; codeLenInByte = 2120
; TotalNumSgprs: 13
; NumVgprs: 23
; ScratchSize: 0
; MemoryBound: 0
; FloatMode: 240
; IeeeMode: 1
; LDSByteSize: 0 bytes/workgroup (compile time only)
; SGPRBlocks: 0
; VGPRBlocks: 2
; NumSGPRsForWavesPerEU: 13
; NumVGPRsForWavesPerEU: 23
; Occupancy: 16
; WaveLimiterHint : 0
; COMPUTE_PGM_RSRC2:SCRATCH_EN: 0
; COMPUTE_PGM_RSRC2:USER_SGPR: 6
; COMPUTE_PGM_RSRC2:TRAP_HANDLER: 0
; COMPUTE_PGM_RSRC2:TGID_X_EN: 1
; COMPUTE_PGM_RSRC2:TGID_Y_EN: 0
; COMPUTE_PGM_RSRC2:TGID_Z_EN: 0
; COMPUTE_PGM_RSRC2:TIDIG_COMP_CNT: 0
	.section	.text._Z30fast_hadamard_transform_kernelI37fast_hadamard_transform_kernel_traitsILi256ELi11E6__halfEEv18HadamardParamsBase,"axG",@progbits,_Z30fast_hadamard_transform_kernelI37fast_hadamard_transform_kernel_traitsILi256ELi11E6__halfEEv18HadamardParamsBase,comdat
	.protected	_Z30fast_hadamard_transform_kernelI37fast_hadamard_transform_kernel_traitsILi256ELi11E6__halfEEv18HadamardParamsBase ; -- Begin function _Z30fast_hadamard_transform_kernelI37fast_hadamard_transform_kernel_traitsILi256ELi11E6__halfEEv18HadamardParamsBase
	.globl	_Z30fast_hadamard_transform_kernelI37fast_hadamard_transform_kernel_traitsILi256ELi11E6__halfEEv18HadamardParamsBase
	.p2align	8
	.type	_Z30fast_hadamard_transform_kernelI37fast_hadamard_transform_kernel_traitsILi256ELi11E6__halfEEv18HadamardParamsBase,@function
_Z30fast_hadamard_transform_kernelI37fast_hadamard_transform_kernel_traitsILi256ELi11E6__halfEEv18HadamardParamsBase: ; @_Z30fast_hadamard_transform_kernelI37fast_hadamard_transform_kernel_traitsILi256ELi11E6__halfEEv18HadamardParamsBase
; %bb.0:
	s_load_dword s0, s[4:5], 0x4
	v_lshlrev_b32_e32 v9, 3, v0
	v_mov_b32_e32 v2, 0
	v_mov_b32_e32 v3, 0
	;; [unrolled: 1-line block ×7, first 2 shown]
	v_lshlrev_b32_e32 v1, 4, v0
	s_ashr_i32 s8, s6, 31
	s_waitcnt lgkmcnt(0)
	v_cmp_gt_u32_e32 vcc_lo, s0, v9
	v_mov_b32_e32 v9, 0
	s_and_saveexec_b32 s0, vcc_lo
	s_cbranch_execz .LBB21_2
; %bb.1:
	s_clause 0x1
	s_load_dwordx2 s[2:3], s[4:5], 0x10
	s_load_dwordx2 s[10:11], s[4:5], 0x28
	s_waitcnt lgkmcnt(0)
	s_mul_i32 s1, s2, s8
	s_mul_hi_u32 s7, s2, s6
	s_mul_i32 s3, s3, s6
	s_add_i32 s1, s7, s1
	s_mul_i32 s2, s2, s6
	s_add_i32 s3, s1, s3
	s_lshl_b64 s[2:3], s[2:3], 1
	s_add_u32 s2, s10, s2
	s_addc_u32 s3, s11, s3
	global_load_dwordx4 v[10:13], v1, s[2:3]
	s_waitcnt vmcnt(0)
	v_cvt_f32_f16_e32 v9, v10
	v_cvt_f32_f16_sdwa v8, v10 dst_sel:DWORD dst_unused:UNUSED_PAD src0_sel:WORD_1
	v_cvt_f32_f16_e32 v7, v11
	v_cvt_f32_f16_sdwa v6, v11 dst_sel:DWORD dst_unused:UNUSED_PAD src0_sel:WORD_1
	;; [unrolled: 2-line block ×4, first 2 shown]
.LBB21_2:
	s_or_b32 exec_lo, exec_lo, s0
	v_mbcnt_lo_u32_b32 v11, -1, 0
	v_add_f32_e32 v10, v8, v9
	v_sub_f32_e32 v8, v9, v8
	v_add_f32_e32 v9, v6, v7
	v_sub_f32_e32 v6, v7, v6
	v_xor_b32_e32 v12, 1, v11
	v_add_f32_e32 v7, v4, v5
	v_sub_f32_e32 v4, v5, v4
	v_add_f32_e32 v5, v2, v3
	v_sub_f32_e32 v2, v3, v2
	v_cmp_gt_i32_e64 s0, 32, v12
	v_add_f32_e32 v3, v9, v10
	v_add_f32_e32 v13, v6, v8
	;; [unrolled: 1-line block ×4, first 2 shown]
	v_cndmask_b32_e64 v12, v11, v12, s0
	v_sub_f32_e32 v9, v10, v9
	v_sub_f32_e32 v6, v8, v6
	v_add_f32_e32 v10, v14, v3
	v_add_f32_e32 v16, v15, v13
	v_lshlrev_b32_e32 v12, 2, v12
	v_sub_f32_e32 v5, v7, v5
	v_sub_f32_e32 v2, v4, v2
	v_xor_b32_e32 v20, 2, v11
	v_and_b32_e32 v8, 1, v0
	ds_bpermute_b32 v4, v12, v10
	ds_bpermute_b32 v7, v12, v16
	v_add_f32_e32 v17, v5, v9
	v_add_f32_e32 v18, v2, v6
	v_sub_f32_e32 v3, v3, v14
	v_sub_f32_e32 v13, v13, v15
	v_cmp_gt_i32_e64 s1, 32, v20
	v_cmp_eq_u32_e64 s0, 0, v8
	ds_bpermute_b32 v8, v12, v17
	ds_bpermute_b32 v14, v12, v18
	;; [unrolled: 1-line block ×4, first 2 shown]
	v_sub_f32_e32 v5, v9, v5
	v_sub_f32_e32 v2, v6, v2
	v_cndmask_b32_e64 v6, v11, v20, s1
	v_cndmask_b32_e64 v9, -v10, v10, s0
	v_cndmask_b32_e64 v10, -v16, v16, s0
	;; [unrolled: 1-line block ×4, first 2 shown]
	v_lshlrev_b32_e32 v16, 2, v6
	ds_bpermute_b32 v6, v12, v5
	s_waitcnt lgkmcnt(6)
	v_add_f32_e32 v4, v9, v4
	v_cndmask_b32_e64 v9, -v17, v17, s0
	ds_bpermute_b32 v17, v12, v2
	s_waitcnt lgkmcnt(6)
	v_add_f32_e32 v7, v10, v7
	v_cndmask_b32_e64 v10, -v18, v18, s0
	ds_bpermute_b32 v18, v16, v4
	v_xor_b32_e32 v22, 4, v11
	s_waitcnt lgkmcnt(6)
	v_add_f32_e32 v8, v9, v8
	v_cndmask_b32_e64 v5, -v5, v5, s0
	s_waitcnt lgkmcnt(5)
	v_add_f32_e32 v9, v10, v14
	s_waitcnt lgkmcnt(4)
	v_add_f32_e32 v3, v3, v15
	;; [unrolled: 2-line block ×3, first 2 shown]
	v_and_b32_e32 v13, 2, v0
	v_cmp_gt_i32_e64 s2, 32, v22
	v_cndmask_b32_e64 v2, -v2, v2, s0
	ds_bpermute_b32 v14, v16, v7
	ds_bpermute_b32 v15, v16, v8
	;; [unrolled: 1-line block ×4, first 2 shown]
	v_cmp_eq_u32_e64 s1, 0, v13
	s_waitcnt lgkmcnt(6)
	v_add_f32_e32 v5, v5, v6
	v_cndmask_b32_e64 v6, v11, v22, s2
	ds_bpermute_b32 v21, v16, v10
	s_waitcnt lgkmcnt(6)
	v_add_f32_e32 v2, v2, v17
	v_cndmask_b32_e64 v4, -v4, v4, s1
	v_cndmask_b32_e64 v7, -v7, v7, s1
	v_lshlrev_b32_e32 v13, 2, v6
	ds_bpermute_b32 v6, v16, v5
	ds_bpermute_b32 v17, v16, v2
	s_waitcnt lgkmcnt(7)
	v_add_f32_e32 v4, v4, v18
	v_cndmask_b32_e64 v8, -v8, v8, s1
	v_cndmask_b32_e64 v9, -v9, v9, s1
	;; [unrolled: 1-line block ×4, first 2 shown]
	ds_bpermute_b32 v18, v13, v4
	s_waitcnt lgkmcnt(7)
	v_add_f32_e32 v7, v7, v14
	s_waitcnt lgkmcnt(6)
	v_add_f32_e32 v8, v8, v15
	;; [unrolled: 2-line block ×4, first 2 shown]
	v_cndmask_b32_e64 v5, -v5, v5, s1
	v_and_b32_e32 v14, 4, v0
	v_cndmask_b32_e64 v2, -v2, v2, s1
	s_waitcnt lgkmcnt(3)
	v_add_f32_e32 v10, v10, v21
	ds_bpermute_b32 v15, v13, v7
	ds_bpermute_b32 v19, v13, v8
	;; [unrolled: 1-line block ×4, first 2 shown]
	v_xor_b32_e32 v22, 8, v11
	v_cmp_eq_u32_e64 s2, 0, v14
	s_waitcnt lgkmcnt(6)
	v_add_f32_e32 v5, v5, v6
	s_waitcnt lgkmcnt(5)
	v_add_f32_e32 v2, v2, v17
	ds_bpermute_b32 v14, v13, v10
	v_cmp_gt_i32_e64 s3, 32, v22
	v_cndmask_b32_e64 v4, -v4, v4, s2
	ds_bpermute_b32 v17, v13, v5
	v_cndmask_b32_e64 v7, -v7, v7, s2
	v_cndmask_b32_e64 v8, -v8, v8, s2
	v_cndmask_b32_e64 v6, v11, v22, s3
	s_waitcnt lgkmcnt(6)
	v_add_f32_e32 v4, v4, v18
	ds_bpermute_b32 v18, v13, v2
	v_cndmask_b32_e64 v9, -v9, v9, s2
	v_cndmask_b32_e64 v3, -v3, v3, s2
	v_lshlrev_b32_e32 v6, 2, v6
	s_waitcnt lgkmcnt(6)
	v_add_f32_e32 v7, v7, v15
	s_waitcnt lgkmcnt(5)
	v_add_f32_e32 v8, v8, v19
	;; [unrolled: 2-line block ×4, first 2 shown]
	ds_bpermute_b32 v22, v6, v4
	v_cndmask_b32_e64 v10, -v10, v10, s2
	v_and_b32_e32 v15, 8, v0
	v_cndmask_b32_e64 v5, -v5, v5, s2
	v_cndmask_b32_e64 v2, -v2, v2, s2
	ds_bpermute_b32 v19, v6, v7
	ds_bpermute_b32 v20, v6, v8
	v_cmp_eq_u32_e64 s3, 0, v15
	ds_bpermute_b32 v15, v6, v9
	ds_bpermute_b32 v21, v6, v3
	s_waitcnt lgkmcnt(7)
	v_add_f32_e32 v10, v10, v14
	s_waitcnt lgkmcnt(6)
	v_add_f32_e32 v5, v5, v17
	v_xor_b32_e32 v14, 16, v11
	s_waitcnt lgkmcnt(5)
	v_add_f32_e32 v2, v2, v18
	v_cndmask_b32_e64 v4, -v4, v4, s3
	ds_bpermute_b32 v17, v6, v10
	ds_bpermute_b32 v18, v6, v5
	v_cmp_gt_i32_e64 s7, 32, v14
	ds_bpermute_b32 v6, v6, v2
	v_cndmask_b32_e64 v7, -v7, v7, s3
	s_waitcnt lgkmcnt(7)
	v_add_f32_e32 v4, v4, v22
	v_cndmask_b32_e64 v8, -v8, v8, s3
	v_cndmask_b32_e64 v11, v11, v14, s7
	v_cndmask_b32_e64 v9, -v9, v9, s3
	v_cndmask_b32_e64 v3, -v3, v3, s3
	s_waitcnt lgkmcnt(6)
	v_add_f32_e32 v7, v7, v19
	s_waitcnt lgkmcnt(5)
	v_add_f32_e32 v8, v8, v20
	v_lshlrev_b32_e32 v11, 2, v11
	s_waitcnt lgkmcnt(4)
	v_add_f32_e32 v9, v9, v15
	s_waitcnt lgkmcnt(3)
	v_add_f32_e32 v3, v3, v21
	v_cndmask_b32_e64 v10, -v10, v10, s3
	v_cndmask_b32_e64 v5, -v5, v5, s3
	ds_bpermute_b32 v14, v11, v4
	ds_bpermute_b32 v15, v11, v7
	;; [unrolled: 1-line block ×5, first 2 shown]
	v_cndmask_b32_e64 v2, -v2, v2, s3
	v_and_b32_e32 v22, 16, v0
	s_waitcnt lgkmcnt(7)
	v_add_f32_e32 v10, v10, v17
	s_waitcnt lgkmcnt(6)
	v_add_f32_e32 v17, v5, v18
	;; [unrolled: 2-line block ×3, first 2 shown]
	v_cmp_eq_u32_e64 s3, 0, v22
	ds_bpermute_b32 v22, v11, v10
	ds_bpermute_b32 v23, v11, v17
	s_barrier
	ds_bpermute_b32 v11, v11, v18
	v_cndmask_b32_e64 v2, -v4, v4, s3
	v_cndmask_b32_e64 v4, -v7, v7, s3
	;; [unrolled: 1-line block ×5, first 2 shown]
	v_add_f32_e32 v2, v2, v14
	v_and_b32_e32 v14, 7, v0
	v_lshrrev_b32_e32 v8, 3, v0
	v_add_f32_e32 v3, v4, v15
	v_add_f32_e32 v4, v5, v19
	;; [unrolled: 1-line block ×4, first 2 shown]
	v_lshrrev_b32_e32 v7, 5, v0
	v_cndmask_b32_e64 v9, -v10, v10, s3
	v_cndmask_b32_e64 v10, -v17, v17, s3
	v_lshl_or_b32 v17, v14, 5, v8
	v_cndmask_b32_e64 v15, -v18, v18, s3
	v_xor_b32_e32 v0, v7, v0
	s_waitcnt lgkmcnt(2)
	v_add_f32_e32 v7, v9, v22
	s_waitcnt lgkmcnt(1)
	v_add_f32_e32 v8, v10, v23
	v_xor_b32_e32 v10, v17, v14
	s_waitcnt lgkmcnt(0)
	v_add_f32_e32 v9, v15, v11
	v_lshl_add_u32 v0, v0, 4, 0
	buffer_gl0_inv
	v_lshl_add_u32 v10, v10, 4, 0
	ds_write_b128 v0, v[2:5]
	ds_write_b128 v0, v[6:9] offset:4096
	s_waitcnt lgkmcnt(0)
	s_barrier
	buffer_gl0_inv
	ds_read_b128 v[2:5], v10
	ds_read_b128 v[6:9], v10 offset:4096
	s_waitcnt lgkmcnt(0)
	s_barrier
	buffer_gl0_inv
	ds_bpermute_b32 v11, v12, v2
	ds_bpermute_b32 v14, v12, v3
	ds_bpermute_b32 v15, v12, v4
	ds_bpermute_b32 v17, v12, v5
	ds_bpermute_b32 v18, v12, v6
	ds_bpermute_b32 v19, v12, v7
	ds_bpermute_b32 v20, v12, v8
	ds_bpermute_b32 v12, v12, v9
	v_cndmask_b32_e64 v2, -v2, v2, s0
	v_cndmask_b32_e64 v3, -v3, v3, s0
	v_cndmask_b32_e64 v4, -v4, v4, s0
	v_cndmask_b32_e64 v5, -v5, v5, s0
	v_cndmask_b32_e64 v6, -v6, v6, s0
	v_cndmask_b32_e64 v7, -v7, v7, s0
	v_cndmask_b32_e64 v8, -v8, v8, s0
	v_cndmask_b32_e64 v9, -v9, v9, s0
	s_waitcnt lgkmcnt(7)
	v_add_f32_e32 v2, v2, v11
	s_waitcnt lgkmcnt(6)
	v_add_f32_e32 v3, v3, v14
	s_waitcnt lgkmcnt(5)
	v_add_f32_e32 v4, v4, v15
	s_waitcnt lgkmcnt(4)
	v_add_f32_e32 v5, v5, v17
	s_waitcnt lgkmcnt(3)
	v_add_f32_e32 v6, v6, v18
	s_waitcnt lgkmcnt(2)
	v_add_f32_e32 v7, v7, v19
	s_waitcnt lgkmcnt(1)
	v_add_f32_e32 v8, v8, v20
	s_waitcnt lgkmcnt(0)
	v_add_f32_e32 v9, v9, v12
	ds_bpermute_b32 v11, v16, v2
	ds_bpermute_b32 v14, v16, v3
	ds_bpermute_b32 v15, v16, v4
	ds_bpermute_b32 v12, v16, v5
	ds_bpermute_b32 v17, v16, v6
	ds_bpermute_b32 v18, v16, v7
	ds_bpermute_b32 v19, v16, v8
	ds_bpermute_b32 v16, v16, v9
	v_cndmask_b32_e64 v2, -v2, v2, s1
	v_cndmask_b32_e64 v3, -v3, v3, s1
	v_cndmask_b32_e64 v4, -v4, v4, s1
	v_cndmask_b32_e64 v5, -v5, v5, s1
	v_cndmask_b32_e64 v6, -v6, v6, s1
	v_cndmask_b32_e64 v7, -v7, v7, s1
	v_cndmask_b32_e64 v8, -v8, v8, s1
	v_cndmask_b32_e64 v9, -v9, v9, s1
	s_waitcnt lgkmcnt(7)
	v_add_f32_e32 v2, v2, v11
	s_waitcnt lgkmcnt(6)
	v_add_f32_e32 v3, v3, v14
	s_waitcnt lgkmcnt(5)
	v_add_f32_e32 v4, v4, v15
	s_waitcnt lgkmcnt(4)
	v_add_f32_e32 v5, v5, v12
	s_waitcnt lgkmcnt(3)
	v_add_f32_e32 v6, v6, v17
	s_waitcnt lgkmcnt(2)
	v_add_f32_e32 v7, v7, v18
	s_waitcnt lgkmcnt(1)
	v_add_f32_e32 v8, v8, v19
	s_waitcnt lgkmcnt(0)
	v_add_f32_e32 v9, v9, v16
	;; [unrolled: 32-line block ×3, first 2 shown]
	ds_write_b128 v10, v[2:5]
	ds_write_b128 v10, v[6:9] offset:4096
	s_waitcnt lgkmcnt(0)
	s_barrier
	buffer_gl0_inv
	s_and_saveexec_b32 s0, vcc_lo
	s_cbranch_execz .LBB21_4
; %bb.3:
	s_clause 0x1
	s_load_dwordx2 s[0:1], s[4:5], 0x18
	s_load_dword s7, s[4:5], 0x20
	ds_read_b128 v[2:5], v0 offset:4096
	ds_read_b128 v[6:9], v0
	s_load_dwordx2 s[2:3], s[4:5], 0x30
	s_waitcnt lgkmcnt(0)
	s_mul_i32 s4, s0, s8
	s_mul_hi_u32 s5, s0, s6
	v_fma_mixlo_f16 v13, s7, v4, 0
	v_fma_mixlo_f16 v12, s7, v2, 0
	;; [unrolled: 1-line block ×4, first 2 shown]
	s_mul_i32 s1, s1, s6
	s_add_i32 s4, s5, s4
	s_mul_i32 s0, s0, s6
	s_add_i32 s1, s4, s1
	v_fma_mixhi_f16 v13, s7, v5, 0
	v_fma_mixhi_f16 v12, s7, v3, 0
	;; [unrolled: 1-line block ×3, first 2 shown]
	s_lshl_b64 s[0:1], s[0:1], 1
	v_fma_mixhi_f16 v10, s7, v7, 0
	s_add_u32 s0, s2, s0
	s_addc_u32 s1, s3, s1
	global_store_dwordx4 v1, v[10:13], s[0:1]
.LBB21_4:
	s_endpgm
	.section	.rodata,"a",@progbits
	.p2align	6, 0x0
	.amdhsa_kernel _Z30fast_hadamard_transform_kernelI37fast_hadamard_transform_kernel_traitsILi256ELi11E6__halfEEv18HadamardParamsBase
		.amdhsa_group_segment_fixed_size 0
		.amdhsa_private_segment_fixed_size 0
		.amdhsa_kernarg_size 56
		.amdhsa_user_sgpr_count 6
		.amdhsa_user_sgpr_private_segment_buffer 1
		.amdhsa_user_sgpr_dispatch_ptr 0
		.amdhsa_user_sgpr_queue_ptr 0
		.amdhsa_user_sgpr_kernarg_segment_ptr 1
		.amdhsa_user_sgpr_dispatch_id 0
		.amdhsa_user_sgpr_flat_scratch_init 0
		.amdhsa_user_sgpr_private_segment_size 0
		.amdhsa_wavefront_size32 1
		.amdhsa_uses_dynamic_stack 0
		.amdhsa_system_sgpr_private_segment_wavefront_offset 0
		.amdhsa_system_sgpr_workgroup_id_x 1
		.amdhsa_system_sgpr_workgroup_id_y 0
		.amdhsa_system_sgpr_workgroup_id_z 0
		.amdhsa_system_sgpr_workgroup_info 0
		.amdhsa_system_vgpr_workitem_id 0
		.amdhsa_next_free_vgpr 24
		.amdhsa_next_free_sgpr 12
		.amdhsa_reserve_vcc 1
		.amdhsa_reserve_flat_scratch 0
		.amdhsa_float_round_mode_32 0
		.amdhsa_float_round_mode_16_64 0
		.amdhsa_float_denorm_mode_32 3
		.amdhsa_float_denorm_mode_16_64 3
		.amdhsa_dx10_clamp 1
		.amdhsa_ieee_mode 1
		.amdhsa_fp16_overflow 0
		.amdhsa_workgroup_processor_mode 1
		.amdhsa_memory_ordered 1
		.amdhsa_forward_progress 1
		.amdhsa_shared_vgpr_count 0
		.amdhsa_exception_fp_ieee_invalid_op 0
		.amdhsa_exception_fp_denorm_src 0
		.amdhsa_exception_fp_ieee_div_zero 0
		.amdhsa_exception_fp_ieee_overflow 0
		.amdhsa_exception_fp_ieee_underflow 0
		.amdhsa_exception_fp_ieee_inexact 0
		.amdhsa_exception_int_div_zero 0
	.end_amdhsa_kernel
	.section	.text._Z30fast_hadamard_transform_kernelI37fast_hadamard_transform_kernel_traitsILi256ELi11E6__halfEEv18HadamardParamsBase,"axG",@progbits,_Z30fast_hadamard_transform_kernelI37fast_hadamard_transform_kernel_traitsILi256ELi11E6__halfEEv18HadamardParamsBase,comdat
.Lfunc_end21:
	.size	_Z30fast_hadamard_transform_kernelI37fast_hadamard_transform_kernel_traitsILi256ELi11E6__halfEEv18HadamardParamsBase, .Lfunc_end21-_Z30fast_hadamard_transform_kernelI37fast_hadamard_transform_kernel_traitsILi256ELi11E6__halfEEv18HadamardParamsBase
                                        ; -- End function
	.set _Z30fast_hadamard_transform_kernelI37fast_hadamard_transform_kernel_traitsILi256ELi11E6__halfEEv18HadamardParamsBase.num_vgpr, 24
	.set _Z30fast_hadamard_transform_kernelI37fast_hadamard_transform_kernel_traitsILi256ELi11E6__halfEEv18HadamardParamsBase.num_agpr, 0
	.set _Z30fast_hadamard_transform_kernelI37fast_hadamard_transform_kernel_traitsILi256ELi11E6__halfEEv18HadamardParamsBase.numbered_sgpr, 12
	.set _Z30fast_hadamard_transform_kernelI37fast_hadamard_transform_kernel_traitsILi256ELi11E6__halfEEv18HadamardParamsBase.num_named_barrier, 0
	.set _Z30fast_hadamard_transform_kernelI37fast_hadamard_transform_kernel_traitsILi256ELi11E6__halfEEv18HadamardParamsBase.private_seg_size, 0
	.set _Z30fast_hadamard_transform_kernelI37fast_hadamard_transform_kernel_traitsILi256ELi11E6__halfEEv18HadamardParamsBase.uses_vcc, 1
	.set _Z30fast_hadamard_transform_kernelI37fast_hadamard_transform_kernel_traitsILi256ELi11E6__halfEEv18HadamardParamsBase.uses_flat_scratch, 0
	.set _Z30fast_hadamard_transform_kernelI37fast_hadamard_transform_kernel_traitsILi256ELi11E6__halfEEv18HadamardParamsBase.has_dyn_sized_stack, 0
	.set _Z30fast_hadamard_transform_kernelI37fast_hadamard_transform_kernel_traitsILi256ELi11E6__halfEEv18HadamardParamsBase.has_recursion, 0
	.set _Z30fast_hadamard_transform_kernelI37fast_hadamard_transform_kernel_traitsILi256ELi11E6__halfEEv18HadamardParamsBase.has_indirect_call, 0
	.section	.AMDGPU.csdata,"",@progbits
; Kernel info:
; codeLenInByte = 2312
; TotalNumSgprs: 14
; NumVgprs: 24
; ScratchSize: 0
; MemoryBound: 0
; FloatMode: 240
; IeeeMode: 1
; LDSByteSize: 0 bytes/workgroup (compile time only)
; SGPRBlocks: 0
; VGPRBlocks: 2
; NumSGPRsForWavesPerEU: 14
; NumVGPRsForWavesPerEU: 24
; Occupancy: 16
; WaveLimiterHint : 0
; COMPUTE_PGM_RSRC2:SCRATCH_EN: 0
; COMPUTE_PGM_RSRC2:USER_SGPR: 6
; COMPUTE_PGM_RSRC2:TRAP_HANDLER: 0
; COMPUTE_PGM_RSRC2:TGID_X_EN: 1
; COMPUTE_PGM_RSRC2:TGID_Y_EN: 0
; COMPUTE_PGM_RSRC2:TGID_Z_EN: 0
; COMPUTE_PGM_RSRC2:TIDIG_COMP_CNT: 0
	.section	.text._Z30fast_hadamard_transform_kernelI37fast_hadamard_transform_kernel_traitsILi256ELi12E6__halfEEv18HadamardParamsBase,"axG",@progbits,_Z30fast_hadamard_transform_kernelI37fast_hadamard_transform_kernel_traitsILi256ELi12E6__halfEEv18HadamardParamsBase,comdat
	.protected	_Z30fast_hadamard_transform_kernelI37fast_hadamard_transform_kernel_traitsILi256ELi12E6__halfEEv18HadamardParamsBase ; -- Begin function _Z30fast_hadamard_transform_kernelI37fast_hadamard_transform_kernel_traitsILi256ELi12E6__halfEEv18HadamardParamsBase
	.globl	_Z30fast_hadamard_transform_kernelI37fast_hadamard_transform_kernel_traitsILi256ELi12E6__halfEEv18HadamardParamsBase
	.p2align	8
	.type	_Z30fast_hadamard_transform_kernelI37fast_hadamard_transform_kernel_traitsILi256ELi12E6__halfEEv18HadamardParamsBase,@function
_Z30fast_hadamard_transform_kernelI37fast_hadamard_transform_kernel_traitsILi256ELi12E6__halfEEv18HadamardParamsBase: ; @_Z30fast_hadamard_transform_kernelI37fast_hadamard_transform_kernel_traitsILi256ELi12E6__halfEEv18HadamardParamsBase
; %bb.0:
	s_clause 0x3
	s_load_dwordx4 s[8:11], s[4:5], 0x10
	s_load_dword s0, s[4:5], 0x4
	s_load_dwordx4 s[12:15], s[4:5], 0x28
	s_load_dword s1, s[4:5], 0x44
	s_ashr_i32 s16, s6, 31
	v_lshlrev_b32_e32 v9, 3, v0
	v_mov_b32_e32 v1, 0
	v_mov_b32_e32 v2, 0
	;; [unrolled: 1-line block ×8, first 2 shown]
	v_lshlrev_b32_e32 v16, 4, v0
	s_waitcnt lgkmcnt(0)
	s_mul_hi_u32 s2, s8, s6
	s_mul_i32 s3, s8, s16
	s_mul_i32 s7, s9, s6
	s_add_i32 s3, s2, s3
	s_mul_i32 s2, s8, s6
	s_add_i32 s3, s3, s7
	v_cmp_gt_u32_e32 vcc_lo, s0, v9
	s_lshl_b64 s[2:3], s[2:3], 1
	v_mov_b32_e32 v9, 0
	s_add_u32 s2, s12, s2
	s_addc_u32 s3, s13, s3
	s_and_saveexec_b32 s7, vcc_lo
	s_cbranch_execz .LBB22_2
; %bb.1:
	global_load_dwordx4 v[10:13], v16, s[2:3]
	s_waitcnt vmcnt(0)
	v_cvt_f32_f16_e32 v9, v10
	v_cvt_f32_f16_sdwa v8, v10 dst_sel:DWORD dst_unused:UNUSED_PAD src0_sel:WORD_1
	v_cvt_f32_f16_e32 v7, v11
	v_cvt_f32_f16_sdwa v6, v11 dst_sel:DWORD dst_unused:UNUSED_PAD src0_sel:WORD_1
	;; [unrolled: 2-line block ×4, first 2 shown]
.LBB22_2:
	s_or_b32 exec_lo, exec_lo, s7
	s_and_b32 s1, 0xffff, s1
	v_mov_b32_e32 v10, 0
	v_add_nc_u32_e32 v17, s1, v0
	v_mov_b32_e32 v11, 0
	v_mov_b32_e32 v12, 0
	;; [unrolled: 1-line block ×4, first 2 shown]
	v_lshlrev_b32_e32 v18, 3, v17
	v_mov_b32_e32 v15, 0
	v_lshlrev_b32_e32 v17, 4, v17
	v_cmp_gt_u32_e64 s0, s0, v18
	v_mov_b32_e32 v18, 0
	s_and_saveexec_b32 s1, s0
	s_cbranch_execz .LBB22_4
; %bb.3:
	global_load_dwordx4 v[19:22], v17, s[2:3]
	s_waitcnt vmcnt(0)
	v_cvt_f32_f16_e32 v18, v19
	v_cvt_f32_f16_sdwa v15, v19 dst_sel:DWORD dst_unused:UNUSED_PAD src0_sel:WORD_1
	v_cvt_f32_f16_e32 v14, v20
	v_cvt_f32_f16_sdwa v13, v20 dst_sel:DWORD dst_unused:UNUSED_PAD src0_sel:WORD_1
	;; [unrolled: 2-line block ×4, first 2 shown]
.LBB22_4:
	s_or_b32 exec_lo, exec_lo, s1
	v_mbcnt_lo_u32_b32 v20, -1, 0
	v_add_f32_e32 v19, v8, v9
	v_sub_f32_e32 v8, v9, v8
	v_add_f32_e32 v9, v15, v18
	v_sub_f32_e32 v15, v18, v15
	v_xor_b32_e32 v21, 1, v20
	v_add_f32_e32 v18, v6, v7
	v_sub_f32_e32 v6, v7, v6
	v_add_f32_e32 v7, v13, v14
	v_sub_f32_e32 v13, v14, v13
	;; [unrolled: 2-line block ×6, first 2 shown]
	v_cmp_gt_i32_e64 s1, 32, v21
	v_add_f32_e32 v10, v18, v19
	v_sub_f32_e32 v18, v19, v18
	v_add_f32_e32 v19, v7, v9
	v_sub_f32_e32 v7, v9, v7
	;; [unrolled: 2-line block ×8, first 2 shown]
	v_cndmask_b32_e64 v1, v20, v21, s1
	v_add_f32_e32 v22, v15, v10
	v_sub_f32_e32 v10, v10, v15
	v_add_f32_e32 v15, v14, v19
	v_sub_f32_e32 v14, v19, v14
	v_add_f32_e32 v19, v5, v9
	v_lshlrev_b32_e32 v1, 2, v1
	v_sub_f32_e32 v5, v9, v5
	v_add_f32_e32 v9, v12, v18
	v_sub_f32_e32 v12, v18, v12
	v_and_b32_e32 v18, 1, v0
	v_add_f32_e32 v21, v4, v8
	v_sub_f32_e32 v4, v8, v4
	ds_bpermute_b32 v8, v1, v22
	ds_bpermute_b32 v23, v1, v19
	;; [unrolled: 1-line block ×3, first 2 shown]
	v_add_f32_e32 v26, v2, v6
	v_sub_f32_e32 v2, v6, v2
	v_cmp_eq_u32_e64 s1, 0, v18
	v_add_f32_e32 v25, v3, v7
	v_sub_f32_e32 v3, v7, v3
	ds_bpermute_b32 v7, v1, v26
	ds_bpermute_b32 v18, v1, v10
	v_cndmask_b32_e64 v6, -v22, v22, s1
	ds_bpermute_b32 v22, v1, v5
	ds_bpermute_b32 v28, v1, v2
	v_cndmask_b32_e64 v19, -v19, v19, s1
	v_cndmask_b32_e64 v9, -v9, v9, s1
	v_add_f32_e32 v29, v11, v13
	v_sub_f32_e32 v11, v13, v11
	v_cndmask_b32_e64 v13, -v26, v26, s1
	v_cndmask_b32_e64 v10, -v10, v10, s1
	;; [unrolled: 1-line block ×3, first 2 shown]
	s_waitcnt lgkmcnt(6)
	v_add_f32_e32 v6, v6, v8
	s_waitcnt lgkmcnt(5)
	v_add_f32_e32 v8, v19, v23
	s_waitcnt lgkmcnt(4)
	v_add_f32_e32 v9, v9, v24
	ds_bpermute_b32 v19, v1, v15
	ds_bpermute_b32 v23, v1, v21
	ds_bpermute_b32 v24, v1, v25
	v_cndmask_b32_e64 v2, -v2, v2, s1
	ds_bpermute_b32 v26, v1, v4
	s_waitcnt lgkmcnt(7)
	v_add_f32_e32 v7, v13, v7
	s_waitcnt lgkmcnt(6)
	v_add_f32_e32 v10, v10, v18
	v_xor_b32_e32 v18, 2, v20
	s_waitcnt lgkmcnt(5)
	v_add_f32_e32 v5, v5, v22
	s_waitcnt lgkmcnt(4)
	v_add_f32_e32 v13, v2, v28
	v_cndmask_b32_e64 v2, -v15, v15, s1
	ds_bpermute_b32 v15, v1, v29
	ds_bpermute_b32 v22, v1, v14
	v_cmp_gt_i32_e64 s2, 32, v18
	v_cndmask_b32_e64 v21, -v21, v21, s1
	v_cndmask_b32_e64 v25, -v25, v25, s1
	;; [unrolled: 1-line block ×3, first 2 shown]
	ds_bpermute_b32 v27, v1, v12
	v_cndmask_b32_e64 v18, v20, v18, s2
	v_cndmask_b32_e64 v4, -v4, v4, s1
	s_waitcnt lgkmcnt(6)
	v_add_f32_e32 v19, v2, v19
	s_waitcnt lgkmcnt(5)
	v_add_f32_e32 v21, v21, v23
	;; [unrolled: 2-line block ×3, first 2 shown]
	v_cndmask_b32_e64 v24, -v29, v29, s1
	v_lshlrev_b32_e32 v2, 2, v18
	ds_bpermute_b32 v18, v1, v3
	ds_bpermute_b32 v25, v1, v11
	s_waitcnt lgkmcnt(5)
	v_add_f32_e32 v4, v4, v26
	v_cndmask_b32_e64 v3, -v3, v3, s1
	ds_bpermute_b32 v26, v2, v5
	ds_bpermute_b32 v28, v2, v8
	s_waitcnt lgkmcnt(6)
	v_add_f32_e32 v15, v24, v15
	v_and_b32_e32 v24, 2, v0
	s_waitcnt lgkmcnt(5)
	v_add_f32_e32 v14, v14, v22
	ds_bpermute_b32 v22, v2, v7
	v_cndmask_b32_e64 v12, -v12, v12, s1
	v_cndmask_b32_e64 v11, -v11, v11, s1
	v_cmp_eq_u32_e64 s2, 0, v24
	ds_bpermute_b32 v24, v2, v10
	ds_bpermute_b32 v29, v2, v9
	s_waitcnt lgkmcnt(7)
	v_add_f32_e32 v12, v12, v27
	ds_bpermute_b32 v27, v2, v6
	v_cndmask_b32_e64 v5, -v5, v5, s2
	v_cndmask_b32_e64 v8, -v8, v8, s2
	;; [unrolled: 1-line block ×3, first 2 shown]
	s_waitcnt lgkmcnt(7)
	v_add_f32_e32 v18, v3, v18
	v_cndmask_b32_e64 v3, -v7, v7, s2
	s_waitcnt lgkmcnt(6)
	v_add_f32_e32 v11, v11, v25
	v_cndmask_b32_e64 v7, -v10, v10, s2
	ds_bpermute_b32 v10, v2, v19
	ds_bpermute_b32 v25, v2, v21
	s_waitcnt lgkmcnt(7)
	v_add_f32_e32 v5, v5, v26
	ds_bpermute_b32 v26, v2, v14
	s_waitcnt lgkmcnt(7)
	v_add_f32_e32 v8, v8, v28
	s_waitcnt lgkmcnt(6)
	v_add_f32_e32 v22, v3, v22
	v_cndmask_b32_e64 v3, -v19, v19, s2
	ds_bpermute_b32 v19, v2, v15
	ds_bpermute_b32 v28, v2, v4
	s_waitcnt lgkmcnt(7)
	v_add_f32_e32 v7, v7, v24
	v_xor_b32_e32 v24, 4, v20
	v_cndmask_b32_e64 v21, -v21, v21, s2
	v_cndmask_b32_e64 v15, -v15, v15, s2
	ds_bpermute_b32 v30, v2, v12
	s_waitcnt lgkmcnt(6)
	v_add_f32_e32 v6, v6, v27
	v_cmp_gt_i32_e64 s3, 32, v24
	ds_bpermute_b32 v27, v2, v23
	v_cndmask_b32_e64 v14, -v14, v14, s2
	v_cndmask_b32_e64 v4, -v4, v4, s2
	ds_bpermute_b32 v31, v2, v13
	v_cndmask_b32_e64 v24, v20, v24, s3
	s_waitcnt lgkmcnt(7)
	v_add_f32_e32 v10, v3, v10
	s_waitcnt lgkmcnt(6)
	v_add_f32_e32 v21, v21, v25
	ds_bpermute_b32 v25, v2, v11
	s_waitcnt lgkmcnt(6)
	v_add_f32_e32 v14, v14, v26
	v_lshlrev_b32_e32 v3, 2, v24
	ds_bpermute_b32 v24, v2, v18
	s_waitcnt lgkmcnt(6)
	v_add_f32_e32 v15, v15, v19
	v_and_b32_e32 v19, 4, v0
	v_cndmask_b32_e64 v9, -v9, v9, s2
	ds_bpermute_b32 v26, v3, v7
	s_waitcnt lgkmcnt(6)
	v_add_f32_e32 v4, v4, v28
	ds_bpermute_b32 v28, v3, v5
	v_cmp_eq_u32_e64 s3, 0, v19
	ds_bpermute_b32 v19, v3, v22
	v_add_f32_e32 v9, v9, v29
	v_cndmask_b32_e64 v12, -v12, v12, s2
	v_cndmask_b32_e64 v23, -v23, v23, s2
	v_cndmask_b32_e64 v18, -v18, v18, s2
	v_cndmask_b32_e64 v11, -v11, v11, s2
	ds_bpermute_b32 v29, v3, v8
	s_waitcnt lgkmcnt(8)
	v_add_f32_e32 v12, v12, v30
	s_waitcnt lgkmcnt(7)
	v_add_f32_e32 v23, v23, v27
	ds_bpermute_b32 v27, v3, v6
	ds_bpermute_b32 v30, v3, v9
	s_waitcnt lgkmcnt(7)
	v_add_f32_e32 v11, v11, v25
	s_waitcnt lgkmcnt(6)
	v_add_f32_e32 v18, v18, v24
	v_cndmask_b32_e64 v22, -v22, v22, s3
	v_cndmask_b32_e64 v7, -v7, v7, s3
	ds_bpermute_b32 v24, v3, v10
	ds_bpermute_b32 v25, v3, v21
	v_cndmask_b32_e64 v13, -v13, v13, s2
	v_cndmask_b32_e64 v5, -v5, v5, s3
	s_waitcnt lgkmcnt(7)
	v_add_f32_e32 v7, v7, v26
	s_waitcnt lgkmcnt(5)
	v_add_f32_e32 v19, v22, v19
	ds_bpermute_b32 v22, v3, v15
	v_xor_b32_e32 v26, 8, v20
	v_add_f32_e32 v13, v13, v31
	ds_bpermute_b32 v31, v3, v12
	v_add_f32_e32 v5, v5, v28
	ds_bpermute_b32 v28, v3, v14
	v_cmp_gt_i32_e64 s7, 32, v26
	v_cndmask_b32_e64 v6, -v6, v6, s3
	v_cndmask_b32_e64 v8, -v8, v8, s3
	;; [unrolled: 1-line block ×5, first 2 shown]
	v_cndmask_b32_e64 v26, v20, v26, s7
	s_waitcnt lgkmcnt(6)
	v_add_f32_e32 v6, v6, v27
	v_add_f32_e32 v8, v8, v29
	s_waitcnt lgkmcnt(5)
	v_add_f32_e32 v9, v9, v30
	ds_bpermute_b32 v27, v3, v23
	ds_bpermute_b32 v29, v3, v4
	s_waitcnt lgkmcnt(6)
	v_add_f32_e32 v10, v10, v24
	s_waitcnt lgkmcnt(5)
	v_add_f32_e32 v21, v21, v25
	v_cndmask_b32_e64 v15, -v15, v15, s3
	v_lshlrev_b32_e32 v24, 2, v26
	ds_bpermute_b32 v25, v3, v18
	v_cndmask_b32_e64 v12, -v12, v12, s3
	v_cndmask_b32_e64 v14, -v14, v14, s3
	s_waitcnt lgkmcnt(5)
	v_add_f32_e32 v15, v15, v22
	ds_bpermute_b32 v22, v24, v9
	ds_bpermute_b32 v32, v3, v13
	s_waitcnt lgkmcnt(6)
	v_add_f32_e32 v12, v12, v31
	v_and_b32_e32 v31, 8, v0
	s_waitcnt lgkmcnt(5)
	v_add_f32_e32 v14, v14, v28
	ds_bpermute_b32 v28, v24, v19
	v_cndmask_b32_e64 v23, -v23, v23, s3
	v_cndmask_b32_e64 v4, -v4, v4, s3
	ds_bpermute_b32 v26, v3, v11
	v_cndmask_b32_e64 v18, -v18, v18, s3
	v_cmp_eq_u32_e64 s7, 0, v31
	ds_bpermute_b32 v31, v24, v5
	s_waitcnt lgkmcnt(7)
	v_add_f32_e32 v23, v23, v27
	ds_bpermute_b32 v27, v24, v6
	ds_bpermute_b32 v30, v24, v8
	s_waitcnt lgkmcnt(8)
	v_add_f32_e32 v4, v4, v29
	ds_bpermute_b32 v29, v24, v7
	s_waitcnt lgkmcnt(8)
	v_add_f32_e32 v18, v18, v25
	v_cndmask_b32_e64 v9, -v9, v9, s7
	ds_bpermute_b32 v25, v24, v10
	v_cndmask_b32_e64 v13, -v13, v13, s3
	v_cndmask_b32_e64 v19, -v19, v19, s7
	;; [unrolled: 1-line block ×3, first 2 shown]
	s_waitcnt lgkmcnt(8)
	v_add_f32_e32 v9, v9, v22
	ds_bpermute_b32 v22, v24, v21
	s_waitcnt lgkmcnt(8)
	v_add_f32_e32 v13, v13, v32
	ds_bpermute_b32 v32, v24, v12
	v_cndmask_b32_e64 v5, -v5, v5, s7
	s_waitcnt lgkmcnt(8)
	v_add_f32_e32 v19, v19, v28
	v_xor_b32_e32 v28, 16, v20
	v_cndmask_b32_e64 v6, -v6, v6, s7
	v_cndmask_b32_e64 v8, -v8, v8, s7
	s_waitcnt lgkmcnt(7)
	v_add_f32_e32 v11, v11, v26
	v_cndmask_b32_e64 v7, -v7, v7, s7
	s_waitcnt lgkmcnt(6)
	v_add_f32_e32 v26, v5, v31
	v_cndmask_b32_e64 v5, -v10, v10, s7
	v_cmp_gt_i32_e64 s8, 32, v28
	ds_bpermute_b32 v33, v24, v13
	s_waitcnt lgkmcnt(6)
	v_add_f32_e32 v6, v6, v27
	s_waitcnt lgkmcnt(5)
	v_add_f32_e32 v8, v8, v30
	;; [unrolled: 2-line block ×3, first 2 shown]
	ds_bpermute_b32 v10, v24, v23
	ds_bpermute_b32 v27, v24, v15
	;; [unrolled: 1-line block ×3, first 2 shown]
	v_cndmask_b32_e64 v21, -v21, v21, s7
	ds_bpermute_b32 v30, v24, v4
	s_waitcnt lgkmcnt(7)
	v_add_f32_e32 v25, v5, v25
	v_cndmask_b32_e64 v5, v20, v28, s8
	v_cndmask_b32_e64 v12, -v12, v12, s7
	s_waitcnt lgkmcnt(6)
	v_add_f32_e32 v20, v21, v22
	v_cndmask_b32_e64 v21, -v23, v23, s7
	ds_bpermute_b32 v23, v24, v11
	v_lshlrev_b32_e32 v22, 2, v5
	s_waitcnt lgkmcnt(6)
	v_add_f32_e32 v12, v12, v32
	ds_bpermute_b32 v5, v24, v18
	v_cndmask_b32_e64 v13, -v13, v13, s7
	v_cndmask_b32_e64 v15, -v15, v15, s7
	ds_bpermute_b32 v28, v22, v6
	ds_bpermute_b32 v31, v22, v8
	;; [unrolled: 1-line block ×3, first 2 shown]
	v_cndmask_b32_e64 v14, -v14, v14, s7
	v_cndmask_b32_e64 v4, -v4, v4, s7
	v_and_b32_e32 v24, 16, v0
	s_waitcnt lgkmcnt(9)
	v_add_f32_e32 v13, v13, v33
	s_waitcnt lgkmcnt(8)
	v_add_f32_e32 v21, v21, v10
	;; [unrolled: 2-line block ×4, first 2 shown]
	v_cmp_eq_u32_e64 s8, 0, v24
	s_waitcnt lgkmcnt(5)
	v_add_f32_e32 v24, v4, v30
	v_cndmask_b32_e64 v4, -v18, v18, s7
	v_cndmask_b32_e64 v10, -v11, v11, s7
	ds_bpermute_b32 v11, v22, v19
	ds_bpermute_b32 v18, v22, v7
	;; [unrolled: 1-line block ×4, first 2 shown]
	v_cndmask_b32_e64 v6, -v6, v6, s8
	v_cndmask_b32_e64 v8, -v8, v8, s8
	;; [unrolled: 1-line block ×3, first 2 shown]
	ds_bpermute_b32 v30, v22, v13
	s_waitcnt lgkmcnt(8)
	v_add_f32_e32 v33, v4, v5
	v_add_f32_e32 v23, v10, v23
	s_waitcnt lgkmcnt(7)
	v_add_f32_e32 v4, v6, v28
	s_waitcnt lgkmcnt(6)
	;; [unrolled: 2-line block ×3, first 2 shown]
	v_add_f32_e32 v6, v9, v32
	v_cndmask_b32_e64 v8, -v19, v19, s8
	v_cndmask_b32_e64 v10, -v26, v26, s8
	ds_bpermute_b32 v19, v22, v25
	ds_bpermute_b32 v26, v22, v20
	;; [unrolled: 1-line block ×4, first 2 shown]
	v_cndmask_b32_e64 v9, -v7, v7, s8
	v_cndmask_b32_e64 v12, -v12, v12, s8
	ds_bpermute_b32 v31, v22, v15
	v_cndmask_b32_e64 v13, -v13, v13, s8
	s_waitcnt lgkmcnt(9)
	v_add_f32_e32 v7, v8, v11
	s_waitcnt lgkmcnt(8)
	v_add_f32_e32 v8, v9, v18
	;; [unrolled: 2-line block ×4, first 2 shown]
	v_cndmask_b32_e64 v12, -v25, v25, s8
	ds_bpermute_b32 v25, v22, v24
	ds_bpermute_b32 v27, v22, v33
	;; [unrolled: 1-line block ×3, first 2 shown]
	s_waitcnt lgkmcnt(8)
	v_add_f32_e32 v11, v13, v30
	v_cndmask_b32_e64 v13, -v20, v20, s8
	v_cndmask_b32_e64 v18, -v21, v21, s8
	;; [unrolled: 1-line block ×3, first 2 shown]
	s_waitcnt lgkmcnt(7)
	v_add_f32_e32 v12, v12, v19
	v_lshrrev_b32_e32 v19, 5, v0
	s_waitcnt lgkmcnt(6)
	v_add_f32_e32 v13, v13, v26
	s_waitcnt lgkmcnt(5)
	v_add_f32_e32 v14, v18, v28
	;; [unrolled: 2-line block ×3, first 2 shown]
	v_and_b32_e32 v26, 7, v0
	v_lshrrev_b32_e32 v20, 3, v0
	v_cndmask_b32_e64 v21, -v24, v24, s8
	v_cndmask_b32_e64 v23, -v23, v23, s8
	v_xor_b32_e32 v0, v19, v0
	v_cndmask_b32_e64 v24, -v33, v33, s8
	v_lshl_or_b32 v28, v26, 5, v20
	v_cndmask_b32_e64 v15, -v15, v15, s8
	s_waitcnt lgkmcnt(2)
	v_add_f32_e32 v19, v21, v25
	s_waitcnt lgkmcnt(0)
	v_add_f32_e32 v21, v23, v22
	v_lshl_add_u32 v22, v0, 4, 0
	v_xor_b32_e32 v0, v28, v26
	v_add_f32_e32 v20, v24, v27
	v_add_f32_e32 v15, v15, v31
	s_barrier
	buffer_gl0_inv
	v_lshl_add_u32 v23, v0, 4, 0
	ds_write_b128 v22, v[4:7]
	ds_write_b128 v22, v[8:11] offset:4096
	ds_write_b128 v22, v[12:15] offset:8192
	;; [unrolled: 1-line block ×3, first 2 shown]
	s_waitcnt lgkmcnt(0)
	s_barrier
	buffer_gl0_inv
	ds_read_b128 v[4:7], v23
	ds_read_b128 v[8:11], v23 offset:4096
	ds_read_b128 v[12:15], v23 offset:8192
	;; [unrolled: 1-line block ×3, first 2 shown]
	s_waitcnt lgkmcnt(0)
	s_barrier
	buffer_gl0_inv
	s_load_dword s4, s[4:5], 0x20
	ds_bpermute_b32 v0, v1, v4
	ds_bpermute_b32 v24, v1, v5
	;; [unrolled: 1-line block ×7, first 2 shown]
	v_cndmask_b32_e64 v4, -v4, v4, s1
	v_cndmask_b32_e64 v5, -v5, v5, s1
	v_cndmask_b32_e64 v6, -v6, v6, s1
	ds_bpermute_b32 v30, v1, v11
	ds_bpermute_b32 v31, v1, v15
	;; [unrolled: 1-line block ×3, first 2 shown]
	v_cndmask_b32_e64 v15, -v15, v15, s1
	v_cndmask_b32_e64 v18, -v18, v18, s1
	s_waitcnt lgkmcnt(0)
	v_add_f32_e32 v0, v4, v0
	v_add_f32_e32 v4, v5, v24
	;; [unrolled: 1-line block ×3, first 2 shown]
	v_cndmask_b32_e64 v6, -v7, v7, s1
	v_cndmask_b32_e64 v7, -v8, v8, s1
	;; [unrolled: 1-line block ×5, first 2 shown]
	ds_bpermute_b32 v11, v1, v12
	ds_bpermute_b32 v24, v1, v13
	;; [unrolled: 1-line block ×3, first 2 shown]
	v_add_f32_e32 v6, v6, v26
	v_add_f32_e32 v7, v7, v27
	;; [unrolled: 1-line block ×3, first 2 shown]
	ds_bpermute_b32 v26, v1, v19
	ds_bpermute_b32 v27, v1, v20
	;; [unrolled: 1-line block ×4, first 2 shown]
	v_add_f32_e32 v8, v8, v28
	ds_bpermute_b32 v28, v2, v0
	v_cndmask_b32_e64 v12, -v12, v12, s1
	v_cndmask_b32_e64 v13, -v13, v13, s1
	;; [unrolled: 1-line block ×3, first 2 shown]
	v_add_f32_e32 v10, v10, v30
	v_cndmask_b32_e64 v4, -v4, v4, s2
	ds_bpermute_b32 v30, v2, v8
	v_cndmask_b32_e64 v0, -v0, v0, s2
	s_waitcnt lgkmcnt(8)
	v_add_f32_e32 v11, v12, v11
	s_waitcnt lgkmcnt(7)
	v_add_f32_e32 v12, v13, v24
	s_waitcnt lgkmcnt(6)
	v_add_f32_e32 v13, v14, v25
	v_add_f32_e32 v14, v15, v31
	v_add_f32_e32 v15, v18, v32
	v_cndmask_b32_e64 v18, -v19, v19, s1
	v_cndmask_b32_e64 v19, -v20, v20, s1
	;; [unrolled: 1-line block ×3, first 2 shown]
	ds_bpermute_b32 v21, v2, v5
	ds_bpermute_b32 v24, v2, v6
	;; [unrolled: 1-line block ×4, first 2 shown]
	s_waitcnt lgkmcnt(7)
	v_add_f32_e32 v1, v20, v1
	s_waitcnt lgkmcnt(6)
	v_add_f32_e32 v20, v4, v29
	v_cndmask_b32_e64 v4, -v5, v5, s2
	v_cndmask_b32_e64 v5, -v6, v6, s2
	;; [unrolled: 1-line block ×5, first 2 shown]
	ds_bpermute_b32 v9, v2, v10
	v_add_f32_e32 v18, v18, v26
	v_add_f32_e32 v19, v19, v27
	s_waitcnt lgkmcnt(6)
	v_add_f32_e32 v0, v0, v28
	ds_bpermute_b32 v26, v2, v11
	ds_bpermute_b32 v27, v2, v12
	;; [unrolled: 1-line block ×4, first 2 shown]
	s_waitcnt lgkmcnt(9)
	v_add_f32_e32 v7, v7, v30
	s_waitcnt lgkmcnt(8)
	v_add_f32_e32 v21, v4, v21
	v_cndmask_b32_e64 v4, -v10, v10, s2
	v_cndmask_b32_e64 v10, -v11, v11, s2
	;; [unrolled: 1-line block ×5, first 2 shown]
	ds_bpermute_b32 v14, v2, v15
	ds_bpermute_b32 v30, v3, v0
	s_waitcnt lgkmcnt(9)
	v_add_f32_e32 v5, v5, v24
	s_waitcnt lgkmcnt(8)
	v_add_f32_e32 v6, v6, v25
	ds_bpermute_b32 v24, v2, v18
	ds_bpermute_b32 v25, v2, v19
	;; [unrolled: 1-line block ×3, first 2 shown]
	s_waitcnt lgkmcnt(9)
	v_add_f32_e32 v9, v4, v9
	v_cndmask_b32_e64 v4, -v15, v15, s2
	v_cndmask_b32_e64 v15, -v18, v18, s2
	v_cndmask_b32_e64 v18, -v19, v19, s2
	ds_bpermute_b32 v19, v3, v20
	s_waitcnt lgkmcnt(9)
	v_add_f32_e32 v10, v10, v26
	s_waitcnt lgkmcnt(8)
	v_add_f32_e32 v11, v11, v27
	;; [unrolled: 2-line block ×4, first 2 shown]
	ds_bpermute_b32 v26, v3, v21
	ds_bpermute_b32 v27, v3, v5
	;; [unrolled: 1-line block ×4, first 2 shown]
	v_cndmask_b32_e64 v0, -v0, v0, s3
	v_cndmask_b32_e64 v1, -v1, v1, s2
	v_add_f32_e32 v8, v8, v31
	s_waitcnt lgkmcnt(9)
	v_add_f32_e32 v14, v4, v14
	s_waitcnt lgkmcnt(7)
	v_add_f32_e32 v15, v15, v24
	v_add_f32_e32 v4, v0, v30
	v_cndmask_b32_e64 v0, -v20, v20, s3
	s_waitcnt lgkmcnt(6)
	v_add_f32_e32 v18, v18, v25
	s_waitcnt lgkmcnt(5)
	v_add_f32_e32 v24, v1, v2
	v_cndmask_b32_e64 v1, -v21, v21, s3
	v_cndmask_b32_e64 v2, -v5, v5, s3
	;; [unrolled: 1-line block ×4, first 2 shown]
	ds_bpermute_b32 v25, v3, v8
	ds_bpermute_b32 v30, v3, v9
	;; [unrolled: 1-line block ×5, first 2 shown]
	s_waitcnt lgkmcnt(9)
	v_add_f32_e32 v5, v0, v19
	ds_bpermute_b32 v19, v3, v13
	s_waitcnt lgkmcnt(9)
	v_add_f32_e32 v6, v1, v26
	s_waitcnt lgkmcnt(8)
	v_add_f32_e32 v7, v2, v27
	s_waitcnt lgkmcnt(7)
	v_add_f32_e32 v0, v20, v28
	s_waitcnt lgkmcnt(6)
	v_add_f32_e32 v1, v21, v29
	ds_bpermute_b32 v20, v3, v14
	ds_bpermute_b32 v21, v3, v15
	;; [unrolled: 1-line block ×4, first 2 shown]
	v_cndmask_b32_e64 v2, -v8, v8, s3
	v_cndmask_b32_e64 v3, -v9, v9, s3
	;; [unrolled: 1-line block ×10, first 2 shown]
	s_waitcnt lgkmcnt(9)
	v_add_f32_e32 v2, v2, v25
	s_waitcnt lgkmcnt(8)
	v_add_f32_e32 v3, v3, v30
	;; [unrolled: 2-line block ×10, first 2 shown]
	ds_write_b128 v23, v[4:7]
	ds_write_b128 v23, v[0:3] offset:4096
	ds_write_b128 v23, v[8:11] offset:8192
	;; [unrolled: 1-line block ×3, first 2 shown]
	s_waitcnt lgkmcnt(0)
	s_barrier
	buffer_gl0_inv
	ds_read_b128 v[0:3], v22
	ds_read_b128 v[4:7], v22 offset:4096
	ds_read_b128 v[12:15], v22 offset:8192
	;; [unrolled: 1-line block ×3, first 2 shown]
	s_mul_i32 s1, s10, s16
	s_mul_hi_u32 s2, s10, s6
	s_add_i32 s1, s2, s1
	s_mul_i32 s2, s11, s6
	s_add_i32 s3, s1, s2
	s_mul_i32 s2, s10, s6
	s_lshl_b64 s[2:3], s[2:3], 1
	s_add_u32 s2, s14, s2
	s_addc_u32 s3, s15, s3
	s_and_saveexec_b32 s1, vcc_lo
	s_cbranch_execnz .LBB22_7
; %bb.5:
	s_or_b32 exec_lo, exec_lo, s1
	s_and_saveexec_b32 s1, s0
	s_cbranch_execnz .LBB22_8
.LBB22_6:
	s_endpgm
.LBB22_7:
	s_waitcnt lgkmcnt(0)
	v_add_f32_e32 v18, v6, v10
	v_add_f32_e32 v19, v4, v8
	;; [unrolled: 1-line block ×8, first 2 shown]
	v_fma_mixlo_f16 v21, s4, v18, 0
	v_fma_mixlo_f16 v20, s4, v19, 0
	v_fma_mixlo_f16 v19, s4, v25, 0
	v_fma_mixlo_f16 v18, s4, v26, 0
	v_fma_mixhi_f16 v21, s4, v22, 0
	v_fma_mixhi_f16 v20, s4, v23, 0
	v_fma_mixhi_f16 v19, s4, v24, 0
	v_fma_mixhi_f16 v18, s4, v27, 0
	global_store_dwordx4 v16, v[18:21], s[2:3]
	s_or_b32 exec_lo, exec_lo, s1
	s_and_saveexec_b32 s1, s0
	s_cbranch_execz .LBB22_6
.LBB22_8:
	s_waitcnt lgkmcnt(1)
	v_sub_f32_e32 v13, v1, v13
	v_sub_f32_e32 v0, v0, v12
	s_waitcnt lgkmcnt(0)
	v_sub_f32_e32 v1, v6, v10
	v_sub_f32_e32 v4, v4, v8
	;; [unrolled: 1-line block ×6, first 2 shown]
	v_fma_mixlo_f16 v3, s4, v1, 0
	v_fma_mixlo_f16 v2, s4, v4, 0
	v_fma_mixlo_f16 v1, s4, v6, 0
	v_fma_mixlo_f16 v0, s4, v0, 0
	v_fma_mixhi_f16 v3, s4, v7, 0
	v_fma_mixhi_f16 v2, s4, v5, 0
	;; [unrolled: 1-line block ×4, first 2 shown]
	global_store_dwordx4 v17, v[0:3], s[2:3]
	s_endpgm
	.section	.rodata,"a",@progbits
	.p2align	6, 0x0
	.amdhsa_kernel _Z30fast_hadamard_transform_kernelI37fast_hadamard_transform_kernel_traitsILi256ELi12E6__halfEEv18HadamardParamsBase
		.amdhsa_group_segment_fixed_size 0
		.amdhsa_private_segment_fixed_size 0
		.amdhsa_kernarg_size 312
		.amdhsa_user_sgpr_count 6
		.amdhsa_user_sgpr_private_segment_buffer 1
		.amdhsa_user_sgpr_dispatch_ptr 0
		.amdhsa_user_sgpr_queue_ptr 0
		.amdhsa_user_sgpr_kernarg_segment_ptr 1
		.amdhsa_user_sgpr_dispatch_id 0
		.amdhsa_user_sgpr_flat_scratch_init 0
		.amdhsa_user_sgpr_private_segment_size 0
		.amdhsa_wavefront_size32 1
		.amdhsa_uses_dynamic_stack 0
		.amdhsa_system_sgpr_private_segment_wavefront_offset 0
		.amdhsa_system_sgpr_workgroup_id_x 1
		.amdhsa_system_sgpr_workgroup_id_y 0
		.amdhsa_system_sgpr_workgroup_id_z 0
		.amdhsa_system_sgpr_workgroup_info 0
		.amdhsa_system_vgpr_workitem_id 0
		.amdhsa_next_free_vgpr 34
		.amdhsa_next_free_sgpr 17
		.amdhsa_reserve_vcc 1
		.amdhsa_reserve_flat_scratch 0
		.amdhsa_float_round_mode_32 0
		.amdhsa_float_round_mode_16_64 0
		.amdhsa_float_denorm_mode_32 3
		.amdhsa_float_denorm_mode_16_64 3
		.amdhsa_dx10_clamp 1
		.amdhsa_ieee_mode 1
		.amdhsa_fp16_overflow 0
		.amdhsa_workgroup_processor_mode 1
		.amdhsa_memory_ordered 1
		.amdhsa_forward_progress 1
		.amdhsa_shared_vgpr_count 0
		.amdhsa_exception_fp_ieee_invalid_op 0
		.amdhsa_exception_fp_denorm_src 0
		.amdhsa_exception_fp_ieee_div_zero 0
		.amdhsa_exception_fp_ieee_overflow 0
		.amdhsa_exception_fp_ieee_underflow 0
		.amdhsa_exception_fp_ieee_inexact 0
		.amdhsa_exception_int_div_zero 0
	.end_amdhsa_kernel
	.section	.text._Z30fast_hadamard_transform_kernelI37fast_hadamard_transform_kernel_traitsILi256ELi12E6__halfEEv18HadamardParamsBase,"axG",@progbits,_Z30fast_hadamard_transform_kernelI37fast_hadamard_transform_kernel_traitsILi256ELi12E6__halfEEv18HadamardParamsBase,comdat
.Lfunc_end22:
	.size	_Z30fast_hadamard_transform_kernelI37fast_hadamard_transform_kernel_traitsILi256ELi12E6__halfEEv18HadamardParamsBase, .Lfunc_end22-_Z30fast_hadamard_transform_kernelI37fast_hadamard_transform_kernel_traitsILi256ELi12E6__halfEEv18HadamardParamsBase
                                        ; -- End function
	.set _Z30fast_hadamard_transform_kernelI37fast_hadamard_transform_kernel_traitsILi256ELi12E6__halfEEv18HadamardParamsBase.num_vgpr, 34
	.set _Z30fast_hadamard_transform_kernelI37fast_hadamard_transform_kernel_traitsILi256ELi12E6__halfEEv18HadamardParamsBase.num_agpr, 0
	.set _Z30fast_hadamard_transform_kernelI37fast_hadamard_transform_kernel_traitsILi256ELi12E6__halfEEv18HadamardParamsBase.numbered_sgpr, 17
	.set _Z30fast_hadamard_transform_kernelI37fast_hadamard_transform_kernel_traitsILi256ELi12E6__halfEEv18HadamardParamsBase.num_named_barrier, 0
	.set _Z30fast_hadamard_transform_kernelI37fast_hadamard_transform_kernel_traitsILi256ELi12E6__halfEEv18HadamardParamsBase.private_seg_size, 0
	.set _Z30fast_hadamard_transform_kernelI37fast_hadamard_transform_kernel_traitsILi256ELi12E6__halfEEv18HadamardParamsBase.uses_vcc, 1
	.set _Z30fast_hadamard_transform_kernelI37fast_hadamard_transform_kernel_traitsILi256ELi12E6__halfEEv18HadamardParamsBase.uses_flat_scratch, 0
	.set _Z30fast_hadamard_transform_kernelI37fast_hadamard_transform_kernel_traitsILi256ELi12E6__halfEEv18HadamardParamsBase.has_dyn_sized_stack, 0
	.set _Z30fast_hadamard_transform_kernelI37fast_hadamard_transform_kernel_traitsILi256ELi12E6__halfEEv18HadamardParamsBase.has_recursion, 0
	.set _Z30fast_hadamard_transform_kernelI37fast_hadamard_transform_kernel_traitsILi256ELi12E6__halfEEv18HadamardParamsBase.has_indirect_call, 0
	.section	.AMDGPU.csdata,"",@progbits
; Kernel info:
; codeLenInByte = 4236
; TotalNumSgprs: 19
; NumVgprs: 34
; ScratchSize: 0
; MemoryBound: 0
; FloatMode: 240
; IeeeMode: 1
; LDSByteSize: 0 bytes/workgroup (compile time only)
; SGPRBlocks: 0
; VGPRBlocks: 4
; NumSGPRsForWavesPerEU: 19
; NumVGPRsForWavesPerEU: 34
; Occupancy: 16
; WaveLimiterHint : 0
; COMPUTE_PGM_RSRC2:SCRATCH_EN: 0
; COMPUTE_PGM_RSRC2:USER_SGPR: 6
; COMPUTE_PGM_RSRC2:TRAP_HANDLER: 0
; COMPUTE_PGM_RSRC2:TGID_X_EN: 1
; COMPUTE_PGM_RSRC2:TGID_Y_EN: 0
; COMPUTE_PGM_RSRC2:TGID_Z_EN: 0
; COMPUTE_PGM_RSRC2:TIDIG_COMP_CNT: 0
	.section	.text._Z30fast_hadamard_transform_kernelI37fast_hadamard_transform_kernel_traitsILi256ELi13E6__halfEEv18HadamardParamsBase,"axG",@progbits,_Z30fast_hadamard_transform_kernelI37fast_hadamard_transform_kernel_traitsILi256ELi13E6__halfEEv18HadamardParamsBase,comdat
	.protected	_Z30fast_hadamard_transform_kernelI37fast_hadamard_transform_kernel_traitsILi256ELi13E6__halfEEv18HadamardParamsBase ; -- Begin function _Z30fast_hadamard_transform_kernelI37fast_hadamard_transform_kernel_traitsILi256ELi13E6__halfEEv18HadamardParamsBase
	.globl	_Z30fast_hadamard_transform_kernelI37fast_hadamard_transform_kernel_traitsILi256ELi13E6__halfEEv18HadamardParamsBase
	.p2align	8
	.type	_Z30fast_hadamard_transform_kernelI37fast_hadamard_transform_kernel_traitsILi256ELi13E6__halfEEv18HadamardParamsBase,@function
_Z30fast_hadamard_transform_kernelI37fast_hadamard_transform_kernel_traitsILi256ELi13E6__halfEEv18HadamardParamsBase: ; @_Z30fast_hadamard_transform_kernelI37fast_hadamard_transform_kernel_traitsILi256ELi13E6__halfEEv18HadamardParamsBase
; %bb.0:
	s_clause 0x3
	s_load_dwordx4 s[12:15], s[4:5], 0x10
	s_load_dword s2, s[4:5], 0x4
	s_load_dwordx4 s[16:19], s[4:5], 0x28
	s_load_dword s0, s[4:5], 0x44
	s_ashr_i32 s11, s6, 31
	v_lshlrev_b32_e32 v9, 3, v0
	v_mov_b32_e32 v1, 0
	v_mov_b32_e32 v2, 0
	;; [unrolled: 1-line block ×8, first 2 shown]
	v_lshlrev_b32_e32 v32, 4, v0
	s_waitcnt lgkmcnt(0)
	s_mul_hi_u32 s1, s12, s6
	s_mul_i32 s3, s12, s11
	s_mul_i32 s7, s13, s6
	s_add_i32 s1, s1, s3
	s_mul_i32 s8, s12, s6
	s_add_i32 s9, s1, s7
	v_cmp_gt_u32_e32 vcc_lo, s2, v9
	s_lshl_b64 s[8:9], s[8:9], 1
	v_mov_b32_e32 v9, 0
	s_add_u32 s8, s16, s8
	s_addc_u32 s9, s17, s9
	s_and_saveexec_b32 s1, vcc_lo
	s_cbranch_execz .LBB23_2
; %bb.1:
	global_load_dwordx4 v[10:13], v32, s[8:9]
	s_waitcnt vmcnt(0)
	v_cvt_f32_f16_e32 v9, v10
	v_cvt_f32_f16_sdwa v8, v10 dst_sel:DWORD dst_unused:UNUSED_PAD src0_sel:WORD_1
	v_cvt_f32_f16_e32 v7, v11
	v_cvt_f32_f16_sdwa v6, v11 dst_sel:DWORD dst_unused:UNUSED_PAD src0_sel:WORD_1
	;; [unrolled: 2-line block ×4, first 2 shown]
.LBB23_2:
	s_or_b32 exec_lo, exec_lo, s1
	s_and_b32 s3, 0xffff, s0
	v_mov_b32_e32 v10, 0
	v_add_nc_u32_e32 v17, s3, v0
	v_mov_b32_e32 v11, 0
	v_mov_b32_e32 v12, 0
	;; [unrolled: 1-line block ×4, first 2 shown]
	v_lshlrev_b32_e32 v16, 3, v17
	v_mov_b32_e32 v15, 0
	v_lshlrev_b32_e32 v33, 4, v17
	v_cmp_gt_u32_e64 s0, s2, v16
	v_mov_b32_e32 v16, 0
	s_and_saveexec_b32 s1, s0
	s_cbranch_execz .LBB23_4
; %bb.3:
	global_load_dwordx4 v[18:21], v33, s[8:9]
	s_waitcnt vmcnt(0)
	v_cvt_f32_f16_e32 v16, v18
	v_cvt_f32_f16_sdwa v15, v18 dst_sel:DWORD dst_unused:UNUSED_PAD src0_sel:WORD_1
	v_cvt_f32_f16_e32 v14, v19
	v_cvt_f32_f16_sdwa v13, v19 dst_sel:DWORD dst_unused:UNUSED_PAD src0_sel:WORD_1
	;; [unrolled: 2-line block ×4, first 2 shown]
.LBB23_4:
	s_or_b32 exec_lo, exec_lo, s1
	v_add_nc_u32_e32 v26, s3, v17
	v_mov_b32_e32 v17, 0
	v_mov_b32_e32 v18, 0
	;; [unrolled: 1-line block ×4, first 2 shown]
	v_lshlrev_b32_e32 v24, 3, v26
	v_mov_b32_e32 v21, 0
	v_mov_b32_e32 v22, 0
	;; [unrolled: 1-line block ×3, first 2 shown]
	v_lshlrev_b32_e32 v34, 4, v26
	v_cmp_gt_u32_e64 s1, s2, v24
	v_mov_b32_e32 v24, 0
	v_mov_b32_e32 v25, 0
	s_and_saveexec_b32 s7, s1
	s_cbranch_execz .LBB23_6
; %bb.5:
	global_load_dwordx4 v[27:30], v34, s[8:9]
	s_waitcnt vmcnt(0)
	v_cvt_f32_f16_e32 v25, v27
	v_cvt_f32_f16_sdwa v24, v27 dst_sel:DWORD dst_unused:UNUSED_PAD src0_sel:WORD_1
	v_cvt_f32_f16_e32 v23, v28
	v_cvt_f32_f16_sdwa v22, v28 dst_sel:DWORD dst_unused:UNUSED_PAD src0_sel:WORD_1
	;; [unrolled: 2-line block ×4, first 2 shown]
.LBB23_6:
	s_or_b32 exec_lo, exec_lo, s7
	v_add_nc_u32_e32 v35, s3, v26
	v_mov_b32_e32 v26, 0
	v_mov_b32_e32 v27, 0
	;; [unrolled: 1-line block ×4, first 2 shown]
	v_lshlrev_b32_e32 v36, 3, v35
	v_mov_b32_e32 v30, 0
	v_mov_b32_e32 v31, 0
	v_lshlrev_b32_e32 v35, 4, v35
	v_cmp_gt_u32_e64 s2, s2, v36
	v_mov_b32_e32 v36, 0
	s_and_saveexec_b32 s3, s2
	s_cbranch_execz .LBB23_8
; %bb.7:
	global_load_dwordx4 v[37:40], v35, s[8:9]
	s_waitcnt vmcnt(0)
	v_cvt_f32_f16_e32 v36, v37
	v_cvt_f32_f16_sdwa v31, v37 dst_sel:DWORD dst_unused:UNUSED_PAD src0_sel:WORD_1
	v_cvt_f32_f16_e32 v30, v38
	v_cvt_f32_f16_sdwa v29, v38 dst_sel:DWORD dst_unused:UNUSED_PAD src0_sel:WORD_1
	;; [unrolled: 2-line block ×4, first 2 shown]
.LBB23_8:
	s_or_b32 exec_lo, exec_lo, s3
	v_add_f32_e32 v37, v8, v9
	v_sub_f32_e32 v8, v9, v8
	v_add_f32_e32 v9, v15, v16
	v_sub_f32_e32 v15, v16, v15
	;; [unrolled: 2-line block ×38, first 2 shown]
	v_mbcnt_lo_u32_b32 v4, -1, 0
	v_add_f32_e32 v38, v1, v15
	v_sub_f32_e32 v15, v15, v1
	v_add_f32_e32 v39, v20, v24
	v_sub_f32_e32 v20, v24, v20
	v_xor_b32_e32 v1, 1, v4
	v_add_f32_e32 v24, v28, v36
	v_sub_f32_e32 v28, v36, v28
	v_add_f32_e32 v36, v3, v7
	v_sub_f32_e32 v3, v7, v3
	v_cmp_gt_i32_e64 s3, 32, v1
	v_add_f32_e32 v7, v10, v14
	v_sub_f32_e32 v10, v14, v10
	v_add_f32_e32 v14, v19, v23
	v_sub_f32_e32 v19, v23, v19
	v_cndmask_b32_e64 v1, v4, v1, s3
	v_add_f32_e32 v23, v2, v6
	v_sub_f32_e32 v2, v6, v2
	v_add_f32_e32 v6, v11, v13
	v_sub_f32_e32 v11, v13, v11
	v_lshlrev_b32_e32 v1, 2, v1
	v_and_b32_e32 v13, 1, v0
	v_add_f32_e32 v45, v18, v22
	s_barrier
	ds_bpermute_b32 v40, v1, v27
	v_cmp_eq_u32_e64 s3, 0, v13
	ds_bpermute_b32 v41, v1, v16
	v_sub_f32_e32 v13, v22, v18
	v_add_f32_e32 v18, v17, v29
	v_sub_f32_e32 v17, v29, v17
	v_cndmask_b32_e64 v22, -v27, v27, s3
	ds_bpermute_b32 v27, v1, v21
	ds_bpermute_b32 v29, v1, v28
	;; [unrolled: 1-line block ×6, first 2 shown]
	v_cndmask_b32_e64 v16, -v16, v16, s3
	v_cndmask_b32_e64 v21, -v21, v21, s3
	;; [unrolled: 1-line block ×5, first 2 shown]
	ds_bpermute_b32 v43, v1, v23
	ds_bpermute_b32 v44, v1, v26
	s_waitcnt lgkmcnt(9)
	v_add_f32_e32 v22, v22, v40
	ds_bpermute_b32 v40, v1, v36
	v_cndmask_b32_e64 v24, -v24, v24, s3
	s_waitcnt lgkmcnt(9)
	v_add_f32_e32 v16, v16, v41
	v_cndmask_b32_e64 v25, -v25, v25, s3
	ds_bpermute_b32 v41, v1, v6
	v_cndmask_b32_e64 v23, -v23, v23, s3
	s_waitcnt lgkmcnt(9)
	v_add_f32_e32 v21, v21, v27
	s_waitcnt lgkmcnt(8)
	v_add_f32_e32 v27, v28, v29
	;; [unrolled: 2-line block ×4, first 2 shown]
	v_cndmask_b32_e64 v2, -v36, v36, s3
	ds_bpermute_b32 v31, v1, v11
	s_waitcnt lgkmcnt(6)
	v_add_f32_e32 v24, v24, v42
	ds_bpermute_b32 v42, v1, v30
	s_waitcnt lgkmcnt(6)
	v_add_f32_e32 v25, v25, v48
	ds_bpermute_b32 v36, v1, v37
	ds_bpermute_b32 v46, v1, v38
	;; [unrolled: 1-line block ×3, first 2 shown]
	v_cndmask_b32_e64 v26, -v26, v26, s3
	v_cndmask_b32_e64 v6, -v6, v6, s3
	s_waitcnt lgkmcnt(6)
	v_add_f32_e32 v40, v2, v40
	v_cndmask_b32_e64 v2, -v11, v11, s3
	v_cndmask_b32_e64 v11, -v37, v37, s3
	;; [unrolled: 1-line block ×3, first 2 shown]
	ds_bpermute_b32 v38, v1, v5
	v_add_f32_e32 v23, v23, v43
	v_add_f32_e32 v26, v26, v44
	ds_bpermute_b32 v43, v1, v8
	ds_bpermute_b32 v44, v1, v3
	v_cndmask_b32_e64 v30, -v30, v30, s3
	s_waitcnt lgkmcnt(8)
	v_add_f32_e32 v6, v6, v41
	ds_bpermute_b32 v41, v1, v15
	v_cndmask_b32_e64 v45, -v45, v45, s3
	s_waitcnt lgkmcnt(8)
	v_add_f32_e32 v31, v2, v31
	v_cndmask_b32_e64 v2, -v5, v5, s3
	v_cndmask_b32_e64 v5, -v15, v15, s3
	ds_bpermute_b32 v15, v1, v39
	s_waitcnt lgkmcnt(8)
	v_add_f32_e32 v30, v30, v42
	ds_bpermute_b32 v42, v1, v10
	s_waitcnt lgkmcnt(8)
	v_add_f32_e32 v11, v11, v36
	s_waitcnt lgkmcnt(7)
	v_add_f32_e32 v36, v37, v46
	;; [unrolled: 2-line block ×3, first 2 shown]
	ds_bpermute_b32 v45, v1, v14
	v_cndmask_b32_e64 v8, -v8, v8, s3
	s_waitcnt lgkmcnt(6)
	v_add_f32_e32 v38, v2, v38
	v_cndmask_b32_e64 v2, -v39, v39, s3
	v_xor_b32_e32 v39, 2, v4
	v_cndmask_b32_e64 v3, -v3, v3, s3
	s_waitcnt lgkmcnt(5)
	v_add_f32_e32 v8, v8, v43
	ds_bpermute_b32 v43, v1, v13
	v_cndmask_b32_e64 v10, -v10, v10, s3
	v_cmp_gt_i32_e64 s7, 32, v39
	s_waitcnt lgkmcnt(5)
	v_add_f32_e32 v3, v3, v44
	ds_bpermute_b32 v44, v1, v9
	ds_bpermute_b32 v46, v1, v18
	v_cndmask_b32_e64 v14, -v14, v14, s3
	v_cndmask_b32_e64 v39, v4, v39, s7
	s_waitcnt lgkmcnt(5)
	v_add_f32_e32 v15, v2, v15
	v_add_f32_e32 v5, v5, v41
	s_waitcnt lgkmcnt(4)
	v_add_f32_e32 v10, v10, v42
	ds_bpermute_b32 v41, v1, v12
	v_lshlrev_b32_e32 v2, 2, v39
	ds_bpermute_b32 v42, v1, v20
	s_waitcnt lgkmcnt(5)
	v_add_f32_e32 v14, v14, v45
	v_and_b32_e32 v39, 2, v0
	v_cndmask_b32_e64 v13, -v13, v13, s3
	ds_bpermute_b32 v45, v2, v22
	ds_bpermute_b32 v49, v2, v26
	v_cndmask_b32_e64 v9, -v9, v9, s3
	v_cndmask_b32_e64 v18, -v18, v18, s3
	v_cmp_eq_u32_e64 s7, 0, v39
	s_waitcnt lgkmcnt(6)
	v_add_f32_e32 v13, v13, v43
	ds_bpermute_b32 v43, v1, v19
	s_waitcnt lgkmcnt(6)
	v_add_f32_e32 v9, v9, v44
	ds_bpermute_b32 v44, v1, v17
	s_waitcnt lgkmcnt(6)
	v_add_f32_e32 v18, v18, v46
	v_cndmask_b32_e64 v12, -v12, v12, s3
	v_cndmask_b32_e64 v20, -v20, v20, s3
	ds_bpermute_b32 v46, v2, v16
	v_cndmask_b32_e64 v22, -v22, v22, s7
	v_cndmask_b32_e64 v26, -v26, v26, s7
	ds_bpermute_b32 v39, v2, v21
	ds_bpermute_b32 v47, v1, v7
	s_waitcnt lgkmcnt(8)
	v_add_f32_e32 v12, v12, v41
	s_waitcnt lgkmcnt(7)
	v_add_f32_e32 v20, v20, v42
	ds_bpermute_b32 v41, v2, v27
	ds_bpermute_b32 v42, v2, v28
	s_waitcnt lgkmcnt(8)
	v_add_f32_e32 v22, v22, v45
	s_waitcnt lgkmcnt(7)
	v_add_f32_e32 v26, v26, v49
	ds_bpermute_b32 v45, v2, v40
	ds_bpermute_b32 v49, v2, v3
	v_cndmask_b32_e64 v19, -v19, v19, s3
	v_cndmask_b32_e64 v17, -v17, v17, s3
	;; [unrolled: 1-line block ×5, first 2 shown]
	ds_bpermute_b32 v48, v2, v23
	s_waitcnt lgkmcnt(9)
	v_add_f32_e32 v19, v19, v43
	s_waitcnt lgkmcnt(8)
	v_add_f32_e32 v17, v17, v44
	ds_bpermute_b32 v43, v2, v29
	ds_bpermute_b32 v44, v2, v25
	s_waitcnt lgkmcnt(9)
	v_add_f32_e32 v16, v16, v46
	v_cndmask_b32_e64 v27, -v27, v27, s7
	v_cndmask_b32_e64 v28, -v28, v28, s7
	ds_bpermute_b32 v46, v2, v6
	s_waitcnt lgkmcnt(9)
	v_add_f32_e32 v21, v21, v39
	v_cndmask_b32_e64 v39, -v40, v40, s7
	v_cndmask_b32_e64 v3, -v3, v3, s7
	ds_bpermute_b32 v40, v2, v31
	s_waitcnt lgkmcnt(9)
	v_add_f32_e32 v7, v7, v47
	ds_bpermute_b32 v47, v2, v24
	s_waitcnt lgkmcnt(9)
	v_add_f32_e32 v27, v27, v41
	s_waitcnt lgkmcnt(8)
	v_add_f32_e32 v28, v28, v42
	ds_bpermute_b32 v41, v2, v11
	ds_bpermute_b32 v42, v2, v36
	s_waitcnt lgkmcnt(9)
	v_add_f32_e32 v39, v39, v45
	s_waitcnt lgkmcnt(8)
	v_add_f32_e32 v45, v3, v49
	v_cndmask_b32_e64 v3, -v31, v31, s7
	v_cndmask_b32_e64 v31, -v36, v36, s7
	ds_bpermute_b32 v36, v2, v38
	v_cndmask_b32_e64 v23, -v23, v23, s7
	v_cndmask_b32_e64 v29, -v29, v29, s7
	;; [unrolled: 1-line block ×5, first 2 shown]
	s_waitcnt lgkmcnt(8)
	v_add_f32_e32 v23, v23, v48
	ds_bpermute_b32 v48, v2, v8
	s_waitcnt lgkmcnt(8)
	v_add_f32_e32 v29, v29, v43
	s_waitcnt lgkmcnt(7)
	v_add_f32_e32 v25, v25, v44
	ds_bpermute_b32 v43, v2, v7
	ds_bpermute_b32 v44, v2, v37
	s_waitcnt lgkmcnt(8)
	v_add_f32_e32 v6, v6, v46
	v_cndmask_b32_e64 v11, -v11, v11, s7
	ds_bpermute_b32 v46, v2, v5
	s_waitcnt lgkmcnt(8)
	v_add_f32_e32 v40, v3, v40
	v_cndmask_b32_e64 v3, -v38, v38, s7
	ds_bpermute_b32 v38, v2, v15
	s_waitcnt lgkmcnt(8)
	v_add_f32_e32 v24, v24, v47
	ds_bpermute_b32 v47, v2, v30
	s_waitcnt lgkmcnt(8)
	v_add_f32_e32 v11, v11, v41
	s_waitcnt lgkmcnt(7)
	v_add_f32_e32 v31, v31, v42
	ds_bpermute_b32 v41, v2, v14
	ds_bpermute_b32 v42, v2, v18
	s_waitcnt lgkmcnt(8)
	v_add_f32_e32 v36, v3, v36
	v_cndmask_b32_e64 v3, -v15, v15, s7
	v_cndmask_b32_e64 v15, -v18, v18, s7
	v_xor_b32_e32 v18, 4, v4
	v_cndmask_b32_e64 v8, -v8, v8, s7
	v_cndmask_b32_e64 v7, -v7, v7, s7
	;; [unrolled: 1-line block ×4, first 2 shown]
	v_cmp_gt_i32_e64 s8, 32, v18
	v_cndmask_b32_e64 v30, -v30, v30, s7
	s_waitcnt lgkmcnt(7)
	v_add_f32_e32 v8, v8, v48
	ds_bpermute_b32 v48, v2, v13
	s_waitcnt lgkmcnt(7)
	v_add_f32_e32 v7, v7, v43
	v_cndmask_b32_e64 v18, v4, v18, s8
	s_waitcnt lgkmcnt(6)
	v_add_f32_e32 v37, v37, v44
	s_waitcnt lgkmcnt(5)
	v_add_f32_e32 v5, v5, v46
	v_cndmask_b32_e64 v14, -v14, v14, s7
	ds_bpermute_b32 v43, v2, v12
	ds_bpermute_b32 v44, v2, v20
	;; [unrolled: 1-line block ×3, first 2 shown]
	s_waitcnt lgkmcnt(7)
	v_add_f32_e32 v38, v3, v38
	v_lshlrev_b32_e32 v3, 2, v18
	s_waitcnt lgkmcnt(6)
	v_add_f32_e32 v30, v30, v47
	ds_bpermute_b32 v47, v2, v10
	ds_bpermute_b32 v49, v2, v9
	s_waitcnt lgkmcnt(7)
	v_add_f32_e32 v14, v14, v41
	ds_bpermute_b32 v41, v3, v22
	v_cndmask_b32_e64 v18, -v20, v20, s7
	v_and_b32_e32 v20, 4, v0
	v_cndmask_b32_e64 v13, -v13, v13, s7
	v_cndmask_b32_e64 v12, -v12, v12, s7
	;; [unrolled: 1-line block ×4, first 2 shown]
	v_cmp_eq_u32_e64 s8, 0, v20
	v_cndmask_b32_e64 v9, -v9, v9, s7
	s_waitcnt lgkmcnt(6)
	v_add_f32_e32 v13, v13, v48
	ds_bpermute_b32 v48, v3, v24
	ds_bpermute_b32 v50, v3, v26
	s_waitcnt lgkmcnt(7)
	v_add_f32_e32 v12, v12, v43
	s_waitcnt lgkmcnt(6)
	v_add_f32_e32 v18, v18, v44
	;; [unrolled: 2-line block ×3, first 2 shown]
	v_cndmask_b32_e64 v20, -v22, v22, s8
	v_cndmask_b32_e64 v22, -v24, v24, s8
	;; [unrolled: 1-line block ×3, first 2 shown]
	ds_bpermute_b32 v26, v3, v21
	ds_bpermute_b32 v43, v3, v27
	;; [unrolled: 1-line block ×4, first 2 shown]
	s_waitcnt lgkmcnt(8)
	v_add_f32_e32 v10, v10, v47
	s_waitcnt lgkmcnt(7)
	v_add_f32_e32 v9, v9, v49
	ds_bpermute_b32 v47, v2, v17
	ds_bpermute_b32 v49, v3, v23
	s_waitcnt lgkmcnt(8)
	v_add_f32_e32 v20, v20, v41
	ds_bpermute_b32 v41, v3, v39
	v_add_f32_e32 v15, v15, v42
	ds_bpermute_b32 v42, v3, v16
	v_cndmask_b32_e64 v21, -v21, v21, s8
	v_cndmask_b32_e64 v27, -v27, v27, s8
	;; [unrolled: 1-line block ×7, first 2 shown]
	s_waitcnt lgkmcnt(9)
	v_add_f32_e32 v22, v22, v48
	s_waitcnt lgkmcnt(7)
	v_add_f32_e32 v21, v21, v26
	;; [unrolled: 2-line block ×5, first 2 shown]
	v_cndmask_b32_e64 v29, -v39, v39, s8
	v_add_f32_e32 v24, v24, v50
	s_waitcnt lgkmcnt(3)
	v_add_f32_e32 v17, v17, v47
	ds_bpermute_b32 v47, v3, v25
	s_waitcnt lgkmcnt(3)
	v_add_f32_e32 v23, v23, v49
	ds_bpermute_b32 v49, v3, v8
	;; [unrolled: 3-line block ×3, first 2 shown]
	ds_bpermute_b32 v48, v3, v30
	ds_bpermute_b32 v50, v3, v45
	v_cndmask_b32_e64 v39, -v45, v45, s8
	ds_bpermute_b32 v43, v3, v40
	ds_bpermute_b32 v44, v3, v11
	ds_bpermute_b32 v45, v3, v31
	s_waitcnt lgkmcnt(8)
	v_add_f32_e32 v16, v16, v42
	ds_bpermute_b32 v42, v3, v6
	v_cndmask_b32_e64 v25, -v25, v25, s8
	v_cndmask_b32_e64 v8, -v8, v8, s8
	;; [unrolled: 1-line block ×4, first 2 shown]
	ds_bpermute_b32 v46, v3, v7
	v_cndmask_b32_e64 v40, -v40, v40, s8
	v_cndmask_b32_e64 v11, -v11, v11, s8
	s_waitcnt lgkmcnt(9)
	v_add_f32_e32 v25, v25, v47
	ds_bpermute_b32 v47, v3, v37
	s_waitcnt lgkmcnt(9)
	v_add_f32_e32 v8, v8, v49
	v_cndmask_b32_e64 v31, -v31, v31, s8
	ds_bpermute_b32 v49, v3, v13
	s_waitcnt lgkmcnt(9)
	v_add_f32_e32 v36, v36, v41
	v_xor_b32_e32 v41, 8, v4
	v_cndmask_b32_e64 v6, -v6, v6, s8
	s_waitcnt lgkmcnt(8)
	v_add_f32_e32 v30, v30, v48
	s_waitcnt lgkmcnt(7)
	v_add_f32_e32 v39, v39, v50
	ds_bpermute_b32 v48, v3, v10
	ds_bpermute_b32 v50, v3, v9
	s_waitcnt lgkmcnt(8)
	v_add_f32_e32 v40, v40, v43
	s_waitcnt lgkmcnt(7)
	v_add_f32_e32 v11, v11, v44
	;; [unrolled: 2-line block ×3, first 2 shown]
	ds_bpermute_b32 v43, v3, v38
	ds_bpermute_b32 v44, v3, v14
	ds_bpermute_b32 v45, v3, v15
	v_cmp_gt_i32_e64 s9, 32, v41
	s_waitcnt lgkmcnt(8)
	v_add_f32_e32 v6, v6, v42
	ds_bpermute_b32 v42, v3, v5
	v_cndmask_b32_e64 v7, -v7, v7, s8
	v_cndmask_b32_e64 v37, -v37, v37, s8
	v_cndmask_b32_e64 v41, v4, v41, s9
	v_cndmask_b32_e64 v13, -v13, v13, s8
	v_cndmask_b32_e64 v10, -v10, v10, s8
	s_waitcnt lgkmcnt(8)
	v_add_f32_e32 v7, v7, v46
	s_waitcnt lgkmcnt(7)
	v_add_f32_e32 v37, v37, v47
	v_lshlrev_b32_e32 v41, 2, v41
	v_cndmask_b32_e64 v9, -v9, v9, s8
	s_waitcnt lgkmcnt(6)
	v_add_f32_e32 v13, v13, v49
	v_cndmask_b32_e64 v38, -v38, v38, s8
	v_cndmask_b32_e64 v14, -v14, v14, s8
	;; [unrolled: 1-line block ×3, first 2 shown]
	ds_bpermute_b32 v46, v3, v18
	ds_bpermute_b32 v47, v3, v19
	;; [unrolled: 1-line block ×4, first 2 shown]
	v_cndmask_b32_e64 v5, -v5, v5, s8
	s_waitcnt lgkmcnt(9)
	v_add_f32_e32 v10, v10, v48
	s_waitcnt lgkmcnt(8)
	v_add_f32_e32 v9, v9, v50
	ds_bpermute_b32 v48, v3, v17
	s_waitcnt lgkmcnt(8)
	v_add_f32_e32 v38, v38, v43
	s_waitcnt lgkmcnt(7)
	v_add_f32_e32 v14, v14, v44
	;; [unrolled: 2-line block ×3, first 2 shown]
	v_and_b32_e32 v43, 8, v0
	ds_bpermute_b32 v44, v41, v20
	ds_bpermute_b32 v45, v41, v16
	ds_bpermute_b32 v50, v41, v23
	s_waitcnt lgkmcnt(8)
	v_add_f32_e32 v5, v5, v42
	ds_bpermute_b32 v42, v3, v12
	v_cmp_eq_u32_e64 s9, 0, v43
	v_cndmask_b32_e64 v18, -v18, v18, s8
	v_cndmask_b32_e64 v19, -v19, v19, s8
	;; [unrolled: 1-line block ×3, first 2 shown]
	ds_bpermute_b32 v43, v41, v26
	v_cndmask_b32_e64 v22, -v22, v22, s9
	v_cndmask_b32_e64 v24, -v24, v24, s9
	s_waitcnt lgkmcnt(9)
	v_add_f32_e32 v18, v18, v46
	s_waitcnt lgkmcnt(8)
	v_add_f32_e32 v19, v19, v47
	v_cndmask_b32_e64 v20, -v20, v20, s9
	v_cndmask_b32_e64 v16, -v16, v16, s9
	;; [unrolled: 1-line block ×3, first 2 shown]
	ds_bpermute_b32 v46, v41, v27
	ds_bpermute_b32 v47, v41, v28
	s_waitcnt lgkmcnt(9)
	v_add_f32_e32 v22, v22, v49
	s_waitcnt lgkmcnt(8)
	v_add_f32_e32 v24, v24, v51
	ds_bpermute_b32 v49, v41, v30
	ds_bpermute_b32 v51, v41, v39
	v_cndmask_b32_e64 v12, -v12, v12, s8
	s_waitcnt lgkmcnt(9)
	v_add_f32_e32 v17, v17, v48
	ds_bpermute_b32 v48, v41, v25
	s_waitcnt lgkmcnt(9)
	v_add_f32_e32 v20, v20, v44
	s_waitcnt lgkmcnt(8)
	v_add_f32_e32 v16, v16, v45
	;; [unrolled: 2-line block ×3, first 2 shown]
	ds_bpermute_b32 v44, v41, v29
	ds_bpermute_b32 v45, v41, v6
	;; [unrolled: 1-line block ×3, first 2 shown]
	s_waitcnt lgkmcnt(9)
	v_add_f32_e32 v12, v12, v42
	ds_bpermute_b32 v42, v41, v21
	v_cndmask_b32_e64 v26, -v26, v26, s9
	v_cndmask_b32_e64 v27, -v27, v27, s9
	;; [unrolled: 1-line block ×6, first 2 shown]
	s_waitcnt lgkmcnt(9)
	v_add_f32_e32 v26, v26, v43
	s_waitcnt lgkmcnt(8)
	v_add_f32_e32 v27, v27, v46
	s_waitcnt lgkmcnt(7)
	v_add_f32_e32 v28, v28, v47
	v_cndmask_b32_e64 v29, -v29, v29, s9
	v_cndmask_b32_e64 v6, -v6, v6, s9
	;; [unrolled: 1-line block ×3, first 2 shown]
	ds_bpermute_b32 v43, v41, v11
	ds_bpermute_b32 v46, v41, v31
	;; [unrolled: 1-line block ×3, first 2 shown]
	s_waitcnt lgkmcnt(9)
	v_add_f32_e32 v30, v30, v49
	s_waitcnt lgkmcnt(8)
	v_add_f32_e32 v39, v39, v51
	ds_bpermute_b32 v49, v41, v10
	ds_bpermute_b32 v51, v41, v9
	v_cndmask_b32_e64 v21, -v21, v21, s9
	s_waitcnt lgkmcnt(9)
	v_add_f32_e32 v25, v25, v48
	ds_bpermute_b32 v48, v41, v37
	s_waitcnt lgkmcnt(9)
	v_add_f32_e32 v29, v29, v44
	s_waitcnt lgkmcnt(8)
	v_add_f32_e32 v44, v6, v45
	;; [unrolled: 2-line block ×3, first 2 shown]
	ds_bpermute_b32 v50, v41, v13
	s_waitcnt lgkmcnt(7)
	v_add_f32_e32 v21, v21, v42
	ds_bpermute_b32 v42, v41, v40
	v_cndmask_b32_e64 v6, -v40, v40, s9
	v_cndmask_b32_e64 v8, -v11, v11, s9
	ds_bpermute_b32 v11, v41, v36
	ds_bpermute_b32 v40, v41, v5
	v_cndmask_b32_e64 v31, -v31, v31, s9
	v_cndmask_b32_e64 v7, -v7, v7, s9
	v_cndmask_b32_e64 v10, -v10, v10, s9
	v_cndmask_b32_e64 v9, -v9, v9, s9
	v_cndmask_b32_e64 v37, -v37, v37, s9
	s_waitcnt lgkmcnt(9)
	v_add_f32_e32 v43, v8, v43
	s_waitcnt lgkmcnt(8)
	v_add_f32_e32 v31, v31, v46
	;; [unrolled: 2-line block ×3, first 2 shown]
	ds_bpermute_b32 v7, v41, v38
	ds_bpermute_b32 v8, v41, v14
	v_cndmask_b32_e64 v13, -v13, v13, s9
	s_waitcnt lgkmcnt(8)
	v_add_f32_e32 v47, v10, v49
	s_waitcnt lgkmcnt(7)
	v_add_f32_e32 v49, v9, v51
	v_xor_b32_e32 v9, 16, v4
	s_waitcnt lgkmcnt(6)
	v_add_f32_e32 v37, v37, v48
	s_waitcnt lgkmcnt(5)
	v_add_f32_e32 v48, v13, v50
	ds_bpermute_b32 v10, v41, v12
	ds_bpermute_b32 v13, v41, v18
	v_cmp_gt_i32_e64 s10, 32, v9
	s_waitcnt lgkmcnt(6)
	v_add_f32_e32 v42, v6, v42
	v_cndmask_b32_e64 v6, -v36, v36, s9
	v_cndmask_b32_e64 v5, -v5, v5, s9
	s_waitcnt lgkmcnt(0)
	buffer_gl0_inv
	v_cndmask_b32_e64 v4, v4, v9, s10
	ds_bpermute_b32 v9, v41, v17
	v_add_f32_e32 v36, v6, v11
	v_add_f32_e32 v40, v5, v40
	v_cndmask_b32_e64 v5, -v38, v38, s9
	ds_bpermute_b32 v6, v41, v15
	v_cndmask_b32_e64 v11, -v14, v14, s9
	ds_bpermute_b32 v14, v41, v19
	v_lshlrev_b32_e32 v51, 2, v4
	v_add_f32_e32 v38, v5, v7
	v_cndmask_b32_e64 v5, -v15, v15, s9
	v_add_f32_e32 v50, v11, v8
	v_cndmask_b32_e64 v7, -v12, v12, s9
	v_cndmask_b32_e64 v4, -v18, v18, s9
	;; [unrolled: 1-line block ×3, first 2 shown]
	ds_bpermute_b32 v12, v51, v20
	ds_bpermute_b32 v15, v51, v16
	;; [unrolled: 1-line block ×4, first 2 shown]
	v_and_b32_e32 v11, 16, v0
	v_add_f32_e32 v52, v7, v10
	v_add_f32_e32 v53, v4, v13
	ds_bpermute_b32 v10, v51, v24
	ds_bpermute_b32 v13, v51, v26
	v_cmp_eq_u32_e64 s10, 0, v11
	s_waitcnt lgkmcnt(7)
	v_add_f32_e32 v41, v5, v6
	v_cndmask_b32_e64 v4, -v17, v17, s9
	s_waitcnt lgkmcnt(6)
	v_add_f32_e32 v54, v8, v14
	ds_bpermute_b32 v11, v51, v21
	v_cndmask_b32_e64 v5, -v20, v20, s10
	v_cndmask_b32_e64 v6, -v16, v16, s10
	;; [unrolled: 1-line block ×4, first 2 shown]
	ds_bpermute_b32 v14, v51, v27
	ds_bpermute_b32 v16, v51, v28
	v_add_f32_e32 v55, v4, v9
	s_waitcnt lgkmcnt(8)
	v_add_f32_e32 v4, v5, v12
	s_waitcnt lgkmcnt(7)
	;; [unrolled: 2-line block ×4, first 2 shown]
	v_add_f32_e32 v7, v8, v19
	v_cndmask_b32_e64 v8, -v24, v24, s10
	v_cndmask_b32_e64 v9, -v21, v21, s10
	;; [unrolled: 1-line block ×3, first 2 shown]
	ds_bpermute_b32 v18, v51, v25
	ds_bpermute_b32 v19, v51, v29
	;; [unrolled: 1-line block ×4, first 2 shown]
	s_waitcnt lgkmcnt(8)
	v_add_f32_e32 v8, v8, v10
	s_waitcnt lgkmcnt(7)
	v_add_f32_e32 v10, v12, v13
	v_cndmask_b32_e64 v13, -v25, v25, s10
	ds_bpermute_b32 v23, v51, v39
	ds_bpermute_b32 v24, v51, v42
	ds_bpermute_b32 v25, v51, v43
	v_cndmask_b32_e64 v15, -v27, v27, s10
	v_cndmask_b32_e64 v17, -v28, v28, s10
	ds_bpermute_b32 v22, v51, v45
	s_waitcnt lgkmcnt(10)
	v_add_f32_e32 v9, v9, v11
	ds_bpermute_b32 v26, v51, v31
	s_waitcnt lgkmcnt(10)
	v_add_f32_e32 v11, v15, v14
	s_waitcnt lgkmcnt(9)
	v_add_f32_e32 v12, v17, v16
	v_cndmask_b32_e64 v14, -v29, v29, s10
	v_cndmask_b32_e64 v15, -v44, v44, s10
	;; [unrolled: 1-line block ×3, first 2 shown]
	ds_bpermute_b32 v27, v51, v46
	s_waitcnt lgkmcnt(9)
	v_add_f32_e32 v13, v13, v18
	s_waitcnt lgkmcnt(8)
	v_add_f32_e32 v14, v14, v19
	;; [unrolled: 2-line block ×4, first 2 shown]
	v_cndmask_b32_e64 v18, -v39, v39, s10
	v_cndmask_b32_e64 v19, -v42, v42, s10
	;; [unrolled: 1-line block ×4, first 2 shown]
	ds_bpermute_b32 v28, v51, v37
	ds_bpermute_b32 v29, v51, v36
	;; [unrolled: 1-line block ×5, first 2 shown]
	v_cndmask_b32_e64 v17, -v45, v45, s10
	s_waitcnt lgkmcnt(10)
	v_add_f32_e32 v18, v18, v23
	s_waitcnt lgkmcnt(9)
	v_add_f32_e32 v19, v19, v24
	;; [unrolled: 2-line block ×3, first 2 shown]
	v_cndmask_b32_e64 v23, -v37, v37, s10
	v_cndmask_b32_e64 v24, -v36, v36, s10
	;; [unrolled: 1-line block ×3, first 2 shown]
	ds_bpermute_b32 v36, v51, v49
	ds_bpermute_b32 v37, v51, v38
	;; [unrolled: 1-line block ×5, first 2 shown]
	s_waitcnt lgkmcnt(12)
	v_add_f32_e32 v17, v17, v22
	v_cndmask_b32_e64 v22, -v46, v46, s10
	s_waitcnt lgkmcnt(11)
	v_add_f32_e32 v21, v21, v26
	v_cndmask_b32_e64 v26, -v47, v47, s10
	s_waitcnt lgkmcnt(9)
	v_add_f32_e32 v23, v23, v28
	s_waitcnt lgkmcnt(8)
	v_add_f32_e32 v24, v24, v29
	v_add_f32_e32 v22, v22, v27
	v_cndmask_b32_e64 v27, -v48, v48, s10
	s_waitcnt lgkmcnt(7)
	v_add_f32_e32 v25, v25, v30
	s_waitcnt lgkmcnt(6)
	v_add_f32_e32 v26, v26, v31
	v_cndmask_b32_e64 v28, -v49, v49, s10
	ds_bpermute_b32 v29, v51, v53
	s_waitcnt lgkmcnt(6)
	v_add_f32_e32 v27, v27, v39
	ds_bpermute_b32 v30, v51, v54
	ds_bpermute_b32 v31, v51, v55
	v_cndmask_b32_e64 v38, -v38, v38, s10
	v_cndmask_b32_e64 v39, -v50, v50, s10
	;; [unrolled: 1-line block ×4, first 2 shown]
	s_waitcnt lgkmcnt(7)
	v_add_f32_e32 v36, v28, v36
	s_waitcnt lgkmcnt(6)
	v_add_f32_e32 v37, v38, v37
	;; [unrolled: 2-line block ×5, first 2 shown]
	v_lshrrev_b32_e32 v28, 5, v0
	v_and_b32_e32 v44, 7, v0
	v_lshrrev_b32_e32 v41, 3, v0
	v_cndmask_b32_e64 v42, -v53, v53, s10
	v_cndmask_b32_e64 v43, -v54, v54, s10
	v_xor_b32_e32 v0, v28, v0
	v_cndmask_b32_e64 v45, -v55, v55, s10
	v_lshl_or_b32 v46, v44, 5, v41
	s_waitcnt lgkmcnt(2)
	v_add_f32_e32 v41, v42, v29
	s_waitcnt lgkmcnt(1)
	v_add_f32_e32 v42, v43, v30
	v_lshl_add_u32 v28, v0, 4, 0
	s_waitcnt lgkmcnt(0)
	v_add_f32_e32 v43, v45, v31
	v_xor_b32_e32 v0, v46, v44
	ds_write_b128 v28, v[4:7]
	ds_write_b128 v28, v[8:11] offset:4096
	ds_write_b128 v28, v[12:15] offset:8192
	;; [unrolled: 1-line block ×7, first 2 shown]
	v_lshl_add_u32 v0, v0, 4, 0
	s_waitcnt lgkmcnt(0)
	s_barrier
	buffer_gl0_inv
	ds_read_b128 v[4:7], v0
	ds_read_b128 v[8:11], v0 offset:4096
	ds_read_b128 v[12:15], v0 offset:8192
	;; [unrolled: 1-line block ×7, first 2 shown]
	s_waitcnt lgkmcnt(0)
	s_barrier
	buffer_gl0_inv
	ds_bpermute_b32 v29, v1, v4
	ds_bpermute_b32 v31, v1, v6
	;; [unrolled: 1-line block ×3, first 2 shown]
	v_cndmask_b32_e64 v4, -v4, v4, s3
	ds_bpermute_b32 v30, v1, v5
	ds_bpermute_b32 v46, v1, v9
	;; [unrolled: 1-line block ×3, first 2 shown]
	v_cndmask_b32_e64 v6, -v6, v6, s3
	v_cndmask_b32_e64 v7, -v7, v7, s3
	ds_bpermute_b32 v47, v1, v11
	ds_bpermute_b32 v48, v1, v12
	;; [unrolled: 1-line block ×4, first 2 shown]
	v_cndmask_b32_e64 v5, -v5, v5, s3
	v_cndmask_b32_e64 v9, -v9, v9, s3
	v_cndmask_b32_e64 v8, -v8, v8, s3
	v_cndmask_b32_e64 v11, -v11, v11, s3
	v_cndmask_b32_e64 v12, -v12, v12, s3
	v_cndmask_b32_e64 v13, -v13, v13, s3
	v_cndmask_b32_e64 v14, -v14, v14, s3
	s_waitcnt lgkmcnt(9)
	v_add_f32_e32 v4, v4, v29
	ds_bpermute_b32 v29, v1, v10
	s_waitcnt lgkmcnt(9)
	v_add_f32_e32 v6, v6, v31
	s_waitcnt lgkmcnt(8)
	v_add_f32_e32 v7, v7, v44
	ds_bpermute_b32 v31, v1, v16
	ds_bpermute_b32 v44, v1, v17
	s_waitcnt lgkmcnt(9)
	v_add_f32_e32 v5, v5, v30
	s_waitcnt lgkmcnt(8)
	v_add_f32_e32 v9, v9, v46
	v_cndmask_b32_e64 v10, -v10, v10, s3
	ds_bpermute_b32 v30, v1, v15
	ds_bpermute_b32 v46, v1, v19
	s_waitcnt lgkmcnt(9)
	v_add_f32_e32 v8, v8, v45
	ds_bpermute_b32 v45, v1, v18
	s_waitcnt lgkmcnt(9)
	v_add_f32_e32 v11, v11, v47
	s_waitcnt lgkmcnt(8)
	v_add_f32_e32 v12, v12, v48
	;; [unrolled: 2-line block ×4, first 2 shown]
	v_cndmask_b32_e64 v16, -v16, v16, s3
	v_cndmask_b32_e64 v17, -v17, v17, s3
	ds_bpermute_b32 v47, v1, v21
	ds_bpermute_b32 v48, v1, v22
	s_waitcnt lgkmcnt(7)
	v_add_f32_e32 v10, v10, v29
	ds_bpermute_b32 v29, v1, v20
	ds_bpermute_b32 v49, v1, v23
	;; [unrolled: 1-line block ×3, first 2 shown]
	s_waitcnt lgkmcnt(9)
	v_add_f32_e32 v16, v16, v31
	s_waitcnt lgkmcnt(8)
	v_add_f32_e32 v17, v17, v44
	ds_bpermute_b32 v31, v1, v26
	ds_bpermute_b32 v44, v1, v27
	v_cndmask_b32_e64 v15, -v15, v15, s3
	v_cndmask_b32_e64 v19, -v19, v19, s3
	;; [unrolled: 1-line block ×5, first 2 shown]
	s_waitcnt lgkmcnt(9)
	v_add_f32_e32 v15, v15, v30
	s_waitcnt lgkmcnt(8)
	v_add_f32_e32 v19, v19, v46
	v_cndmask_b32_e64 v22, -v22, v22, s3
	v_cndmask_b32_e64 v23, -v23, v23, s3
	;; [unrolled: 1-line block ×3, first 2 shown]
	ds_bpermute_b32 v30, v1, v25
	ds_bpermute_b32 v46, v1, v37
	s_waitcnt lgkmcnt(9)
	v_add_f32_e32 v18, v18, v45
	ds_bpermute_b32 v45, v1, v36
	s_waitcnt lgkmcnt(7)
	v_add_f32_e32 v20, v20, v29
	v_add_f32_e32 v21, v21, v47
	;; [unrolled: 1-line block ×3, first 2 shown]
	s_waitcnt lgkmcnt(6)
	v_add_f32_e32 v23, v23, v49
	s_waitcnt lgkmcnt(5)
	v_add_f32_e32 v24, v24, v50
	v_cndmask_b32_e64 v26, -v26, v26, s3
	v_cndmask_b32_e64 v27, -v27, v27, s3
	;; [unrolled: 1-line block ×4, first 2 shown]
	ds_bpermute_b32 v37, v1, v38
	ds_bpermute_b32 v47, v1, v39
	;; [unrolled: 1-line block ×5, first 2 shown]
	s_waitcnt lgkmcnt(9)
	v_add_f32_e32 v26, v26, v31
	s_waitcnt lgkmcnt(8)
	v_add_f32_e32 v27, v27, v44
	v_cndmask_b32_e64 v31, -v38, v38, s3
	v_cndmask_b32_e64 v38, -v40, v40, s3
	;; [unrolled: 1-line block ×3, first 2 shown]
	ds_bpermute_b32 v1, v1, v43
	ds_bpermute_b32 v42, v2, v5
	;; [unrolled: 1-line block ×3, first 2 shown]
	v_cndmask_b32_e64 v25, -v25, v25, s3
	v_cndmask_b32_e64 v5, -v5, v5, s7
	;; [unrolled: 1-line block ×3, first 2 shown]
	s_waitcnt lgkmcnt(8)
	v_add_f32_e32 v29, v29, v45
	ds_bpermute_b32 v45, v2, v7
	v_add_f32_e32 v25, v25, v30
	v_add_f32_e32 v30, v36, v46
	v_cndmask_b32_e64 v36, -v39, v39, s3
	v_cndmask_b32_e64 v39, -v41, v41, s3
	ds_bpermute_b32 v41, v2, v4
	s_waitcnt lgkmcnt(9)
	v_add_f32_e32 v31, v31, v37
	s_waitcnt lgkmcnt(7)
	v_add_f32_e32 v37, v38, v48
	v_add_f32_e32 v36, v36, v47
	s_waitcnt lgkmcnt(6)
	v_add_f32_e32 v38, v39, v49
	s_waitcnt lgkmcnt(5)
	v_add_f32_e32 v39, v40, v50
	v_cndmask_b32_e64 v40, -v43, v43, s3
	ds_bpermute_b32 v43, v2, v8
	ds_bpermute_b32 v46, v2, v9
	;; [unrolled: 1-line block ×5, first 2 shown]
	s_waitcnt lgkmcnt(9)
	v_add_f32_e32 v1, v40, v1
	s_waitcnt lgkmcnt(8)
	v_add_f32_e32 v5, v5, v42
	;; [unrolled: 2-line block ×3, first 2 shown]
	ds_bpermute_b32 v40, v2, v13
	ds_bpermute_b32 v42, v2, v15
	;; [unrolled: 1-line block ×3, first 2 shown]
	v_cndmask_b32_e64 v4, -v4, v4, s7
	v_cndmask_b32_e64 v8, -v8, v8, s7
	;; [unrolled: 1-line block ×5, first 2 shown]
	s_waitcnt lgkmcnt(8)
	v_add_f32_e32 v4, v4, v41
	ds_bpermute_b32 v41, v2, v14
	v_cndmask_b32_e64 v7, -v7, v7, s7
	v_cndmask_b32_e64 v12, -v12, v12, s7
	s_waitcnt lgkmcnt(8)
	v_add_f32_e32 v8, v8, v43
	s_waitcnt lgkmcnt(7)
	v_add_f32_e32 v9, v9, v46
	;; [unrolled: 2-line block ×4, first 2 shown]
	v_cndmask_b32_e64 v13, -v13, v13, s7
	v_cndmask_b32_e64 v15, -v15, v15, s7
	;; [unrolled: 1-line block ×3, first 2 shown]
	ds_bpermute_b32 v43, v2, v18
	ds_bpermute_b32 v46, v2, v19
	;; [unrolled: 1-line block ×4, first 2 shown]
	v_add_f32_e32 v7, v7, v45
	ds_bpermute_b32 v45, v2, v17
	s_waitcnt lgkmcnt(9)
	v_add_f32_e32 v12, v12, v49
	ds_bpermute_b32 v49, v2, v22
	s_waitcnt lgkmcnt(9)
	v_add_f32_e32 v13, v13, v40
	s_waitcnt lgkmcnt(8)
	v_add_f32_e32 v15, v15, v42
	;; [unrolled: 2-line block ×3, first 2 shown]
	ds_bpermute_b32 v40, v2, v23
	ds_bpermute_b32 v42, v2, v25
	;; [unrolled: 1-line block ×3, first 2 shown]
	v_cndmask_b32_e64 v14, -v14, v14, s7
	v_cndmask_b32_e64 v18, -v18, v18, s7
	;; [unrolled: 1-line block ×5, first 2 shown]
	s_waitcnt lgkmcnt(9)
	v_add_f32_e32 v14, v14, v41
	ds_bpermute_b32 v41, v2, v24
	v_cndmask_b32_e64 v17, -v17, v17, s7
	v_cndmask_b32_e64 v22, -v22, v22, s7
	s_waitcnt lgkmcnt(9)
	v_add_f32_e32 v18, v18, v43
	s_waitcnt lgkmcnt(8)
	v_add_f32_e32 v19, v19, v46
	;; [unrolled: 2-line block ×4, first 2 shown]
	v_cndmask_b32_e64 v23, -v23, v23, s7
	v_cndmask_b32_e64 v25, -v25, v25, s7
	;; [unrolled: 1-line block ×3, first 2 shown]
	ds_bpermute_b32 v43, v2, v29
	ds_bpermute_b32 v46, v2, v30
	;; [unrolled: 1-line block ×4, first 2 shown]
	s_waitcnt lgkmcnt(9)
	v_add_f32_e32 v17, v17, v45
	ds_bpermute_b32 v45, v2, v27
	s_waitcnt lgkmcnt(9)
	v_add_f32_e32 v22, v22, v49
	ds_bpermute_b32 v49, v2, v37
	s_waitcnt lgkmcnt(9)
	v_add_f32_e32 v23, v23, v40
	s_waitcnt lgkmcnt(8)
	v_add_f32_e32 v25, v25, v42
	;; [unrolled: 2-line block ×3, first 2 shown]
	ds_bpermute_b32 v40, v2, v38
	ds_bpermute_b32 v42, v3, v4
	;; [unrolled: 1-line block ×3, first 2 shown]
	v_cndmask_b32_e64 v24, -v24, v24, s7
	v_cndmask_b32_e64 v29, -v29, v29, s7
	;; [unrolled: 1-line block ×5, first 2 shown]
	s_waitcnt lgkmcnt(9)
	v_add_f32_e32 v24, v24, v41
	ds_bpermute_b32 v41, v2, v39
	ds_bpermute_b32 v2, v2, v1
	v_cndmask_b32_e64 v27, -v27, v27, s7
	v_cndmask_b32_e64 v37, -v37, v37, s7
	s_waitcnt lgkmcnt(10)
	v_add_f32_e32 v29, v29, v43
	s_waitcnt lgkmcnt(9)
	v_add_f32_e32 v30, v30, v46
	;; [unrolled: 2-line block ×4, first 2 shown]
	v_cndmask_b32_e64 v36, -v38, v38, s7
	v_cndmask_b32_e64 v4, -v4, v4, s8
	;; [unrolled: 1-line block ×3, first 2 shown]
	ds_bpermute_b32 v38, v3, v6
	ds_bpermute_b32 v46, v3, v8
	;; [unrolled: 1-line block ×4, first 2 shown]
	s_waitcnt lgkmcnt(10)
	v_add_f32_e32 v27, v27, v45
	s_waitcnt lgkmcnt(9)
	v_add_f32_e32 v45, v37, v49
	v_cndmask_b32_e64 v37, -v39, v39, s7
	ds_bpermute_b32 v39, v3, v7
	s_waitcnt lgkmcnt(9)
	v_add_f32_e32 v40, v36, v40
	s_waitcnt lgkmcnt(8)
	v_add_f32_e32 v4, v4, v42
	;; [unrolled: 2-line block ×3, first 2 shown]
	ds_bpermute_b32 v36, v3, v11
	ds_bpermute_b32 v42, v3, v13
	;; [unrolled: 1-line block ×4, first 2 shown]
	v_cndmask_b32_e64 v1, -v1, v1, s7
	v_cndmask_b32_e64 v8, -v8, v8, s8
	;; [unrolled: 1-line block ×5, first 2 shown]
	s_waitcnt lgkmcnt(9)
	v_add_f32_e32 v1, v1, v2
	v_cndmask_b32_e64 v2, -v6, v6, s8
	v_add_f32_e32 v41, v37, v41
	ds_bpermute_b32 v37, v3, v12
	s_waitcnt lgkmcnt(8)
	v_add_f32_e32 v8, v8, v46
	s_waitcnt lgkmcnt(7)
	v_add_f32_e32 v9, v9, v47
	v_add_f32_e32 v6, v2, v38
	s_waitcnt lgkmcnt(6)
	v_add_f32_e32 v10, v10, v48
	v_cndmask_b32_e64 v2, -v11, v11, s8
	v_cndmask_b32_e64 v13, -v13, v13, s8
	v_cndmask_b32_e64 v14, -v14, v14, s8
	v_cndmask_b32_e64 v15, -v15, v15, s8
	ds_bpermute_b32 v38, v3, v16
	ds_bpermute_b32 v46, v3, v18
	ds_bpermute_b32 v47, v3, v19
	ds_bpermute_b32 v48, v3, v20
	s_waitcnt lgkmcnt(9)
	v_add_f32_e32 v7, v7, v39
	ds_bpermute_b32 v39, v3, v17
	s_waitcnt lgkmcnt(9)
	v_add_f32_e32 v11, v2, v36
	s_waitcnt lgkmcnt(8)
	v_add_f32_e32 v13, v13, v42
	;; [unrolled: 2-line block ×4, first 2 shown]
	ds_bpermute_b32 v36, v3, v21
	ds_bpermute_b32 v42, v3, v23
	;; [unrolled: 1-line block ×4, first 2 shown]
	v_cndmask_b32_e64 v12, -v12, v12, s8
	v_cndmask_b32_e64 v2, -v16, v16, s8
	;; [unrolled: 1-line block ×6, first 2 shown]
	s_waitcnt lgkmcnt(9)
	v_add_f32_e32 v12, v12, v37
	ds_bpermute_b32 v37, v3, v22
	s_waitcnt lgkmcnt(9)
	v_add_f32_e32 v16, v2, v38
	s_waitcnt lgkmcnt(8)
	v_add_f32_e32 v18, v18, v46
	;; [unrolled: 2-line block ×4, first 2 shown]
	v_cndmask_b32_e64 v2, -v21, v21, s8
	v_cndmask_b32_e64 v23, -v23, v23, s8
	;; [unrolled: 1-line block ×4, first 2 shown]
	ds_bpermute_b32 v38, v3, v26
	ds_bpermute_b32 v46, v3, v29
	;; [unrolled: 1-line block ×4, first 2 shown]
	s_waitcnt lgkmcnt(9)
	v_add_f32_e32 v17, v17, v39
	ds_bpermute_b32 v39, v3, v27
	s_waitcnt lgkmcnt(9)
	v_add_f32_e32 v21, v2, v36
	s_waitcnt lgkmcnt(8)
	v_add_f32_e32 v23, v23, v42
	s_waitcnt lgkmcnt(7)
	v_add_f32_e32 v24, v24, v44
	s_waitcnt lgkmcnt(6)
	v_add_f32_e32 v25, v25, v49
	ds_bpermute_b32 v2, v3, v43
	ds_bpermute_b32 v42, v3, v45
	;; [unrolled: 1-line block ×5, first 2 shown]
	v_cndmask_b32_e64 v22, -v22, v22, s8
	v_cndmask_b32_e64 v26, -v26, v26, s8
	;; [unrolled: 1-line block ×6, first 2 shown]
	s_waitcnt lgkmcnt(10)
	v_add_f32_e32 v22, v22, v37
	s_waitcnt lgkmcnt(9)
	v_add_f32_e32 v26, v26, v38
	;; [unrolled: 2-line block ×5, first 2 shown]
	v_cndmask_b32_e64 v29, -v43, v43, s8
	v_cndmask_b32_e64 v30, -v45, v45, s8
	;; [unrolled: 1-line block ×5, first 2 shown]
	s_waitcnt lgkmcnt(5)
	v_add_f32_e32 v27, v27, v39
	s_waitcnt lgkmcnt(4)
	v_add_f32_e32 v39, v29, v2
	;; [unrolled: 2-line block ×6, first 2 shown]
	ds_write_b128 v0, v[4:7]
	ds_write_b128 v0, v[8:11] offset:4096
	ds_write_b128 v0, v[12:15] offset:8192
	;; [unrolled: 1-line block ×7, first 2 shown]
	s_waitcnt lgkmcnt(0)
	s_barrier
	buffer_gl0_inv
	ds_read_b128 v[0:3], v28
	ds_read_b128 v[8:11], v28 offset:8192
	ds_read_b128 v[4:7], v28 offset:16384
	;; [unrolled: 1-line block ×7, first 2 shown]
	s_mul_i32 s3, s14, s11
	s_mul_hi_u32 s7, s14, s6
	s_add_i32 s3, s7, s3
	s_mul_i32 s7, s15, s6
	s_mul_i32 s6, s14, s6
	s_add_i32 s7, s3, s7
	s_load_dword s3, s[4:5], 0x20
	s_lshl_b64 s[4:5], s[6:7], 1
	s_add_u32 s4, s18, s4
	s_addc_u32 s5, s19, s5
	s_waitcnt lgkmcnt(0)
	v_add_f32_e32 v41, v0, v8
	v_add_f32_e32 v42, v1, v9
	;; [unrolled: 1-line block ×16, first 2 shown]
	s_and_saveexec_b32 s6, vcc_lo
	s_cbranch_execz .LBB23_10
; %bb.9:
	v_add_f32_e32 v52, v50, v51
	v_add_f32_e32 v53, v39, v43
	v_add_f32_e32 v59, v45, v49
	v_add_f32_e32 v60, v41, v46
	v_add_f32_e32 v56, v44, v48
	v_add_f32_e32 v57, v38, v40
	v_add_f32_e32 v58, v36, v37
	v_add_f32_e32 v61, v42, v47
	v_fma_mixlo_f16 v55, s3, v52, 0
	v_fma_mixlo_f16 v54, s3, v53, 0
	;; [unrolled: 1-line block ×4, first 2 shown]
	v_fma_mixhi_f16 v55, s3, v56, 0
	v_fma_mixhi_f16 v54, s3, v57, 0
	;; [unrolled: 1-line block ×4, first 2 shown]
	global_store_dwordx4 v32, v[52:55], s[4:5]
.LBB23_10:
	s_or_b32 exec_lo, exec_lo, s6
	v_sub_f32_e32 v9, v1, v9
	v_sub_f32_e32 v8, v0, v8
	;; [unrolled: 1-line block ×16, first 2 shown]
	s_and_saveexec_b32 s6, s0
	s_cbranch_execnz .LBB23_14
; %bb.11:
	s_or_b32 exec_lo, exec_lo, s6
	s_and_saveexec_b32 s0, s1
	s_cbranch_execnz .LBB23_15
.LBB23_12:
	s_or_b32 exec_lo, exec_lo, s0
	s_and_saveexec_b32 s0, s2
	s_cbranch_execnz .LBB23_16
.LBB23_13:
	s_endpgm
.LBB23_14:
	v_add_f32_e32 v16, v8, v12
	v_add_f32_e32 v17, v0, v1
	;; [unrolled: 1-line block ×8, first 2 shown]
	v_fma_mixlo_f16 v19, s3, v18, 0
	v_fma_mixlo_f16 v18, s3, v21, 0
	v_fma_mixlo_f16 v17, s3, v17, 0
	v_fma_mixlo_f16 v16, s3, v16, 0
	v_fma_mixhi_f16 v19, s3, v24, 0
	v_fma_mixhi_f16 v18, s3, v23, 0
	;; [unrolled: 1-line block ×4, first 2 shown]
	global_store_dwordx4 v33, v[16:19], s[4:5]
	s_or_b32 exec_lo, exec_lo, s6
	s_and_saveexec_b32 s0, s1
	s_cbranch_execz .LBB23_12
.LBB23_15:
	v_sub_f32_e32 v16, v41, v46
	v_sub_f32_e32 v17, v45, v49
	;; [unrolled: 1-line block ×8, first 2 shown]
	v_fma_mixlo_f16 v19, s3, v18, 0
	v_fma_mixlo_f16 v18, s3, v21, 0
	;; [unrolled: 1-line block ×4, first 2 shown]
	v_fma_mixhi_f16 v19, s3, v24, 0
	v_fma_mixhi_f16 v18, s3, v23, 0
	;; [unrolled: 1-line block ×4, first 2 shown]
	global_store_dwordx4 v34, v[16:19], s[4:5]
	s_or_b32 exec_lo, exec_lo, s0
	s_and_saveexec_b32 s0, s2
	s_cbranch_execz .LBB23_13
.LBB23_16:
	v_sub_f32_e32 v8, v8, v12
	v_sub_f32_e32 v10, v11, v10
	;; [unrolled: 1-line block ×8, first 2 shown]
	v_fma_mixlo_f16 v3, s3, v11, 0
	v_fma_mixlo_f16 v2, s3, v4, 0
	;; [unrolled: 1-line block ×4, first 2 shown]
	v_fma_mixhi_f16 v3, s3, v5, 0
	v_fma_mixhi_f16 v2, s3, v6, 0
	v_fma_mixhi_f16 v1, s3, v10, 0
	v_fma_mixhi_f16 v0, s3, v9, 0
	global_store_dwordx4 v35, v[0:3], s[4:5]
	s_endpgm
	.section	.rodata,"a",@progbits
	.p2align	6, 0x0
	.amdhsa_kernel _Z30fast_hadamard_transform_kernelI37fast_hadamard_transform_kernel_traitsILi256ELi13E6__halfEEv18HadamardParamsBase
		.amdhsa_group_segment_fixed_size 0
		.amdhsa_private_segment_fixed_size 0
		.amdhsa_kernarg_size 312
		.amdhsa_user_sgpr_count 6
		.amdhsa_user_sgpr_private_segment_buffer 1
		.amdhsa_user_sgpr_dispatch_ptr 0
		.amdhsa_user_sgpr_queue_ptr 0
		.amdhsa_user_sgpr_kernarg_segment_ptr 1
		.amdhsa_user_sgpr_dispatch_id 0
		.amdhsa_user_sgpr_flat_scratch_init 0
		.amdhsa_user_sgpr_private_segment_size 0
		.amdhsa_wavefront_size32 1
		.amdhsa_uses_dynamic_stack 0
		.amdhsa_system_sgpr_private_segment_wavefront_offset 0
		.amdhsa_system_sgpr_workgroup_id_x 1
		.amdhsa_system_sgpr_workgroup_id_y 0
		.amdhsa_system_sgpr_workgroup_id_z 0
		.amdhsa_system_sgpr_workgroup_info 0
		.amdhsa_system_vgpr_workitem_id 0
		.amdhsa_next_free_vgpr 62
		.amdhsa_next_free_sgpr 20
		.amdhsa_reserve_vcc 1
		.amdhsa_reserve_flat_scratch 0
		.amdhsa_float_round_mode_32 0
		.amdhsa_float_round_mode_16_64 0
		.amdhsa_float_denorm_mode_32 3
		.amdhsa_float_denorm_mode_16_64 3
		.amdhsa_dx10_clamp 1
		.amdhsa_ieee_mode 1
		.amdhsa_fp16_overflow 0
		.amdhsa_workgroup_processor_mode 1
		.amdhsa_memory_ordered 1
		.amdhsa_forward_progress 1
		.amdhsa_shared_vgpr_count 0
		.amdhsa_exception_fp_ieee_invalid_op 0
		.amdhsa_exception_fp_denorm_src 0
		.amdhsa_exception_fp_ieee_div_zero 0
		.amdhsa_exception_fp_ieee_overflow 0
		.amdhsa_exception_fp_ieee_underflow 0
		.amdhsa_exception_fp_ieee_inexact 0
		.amdhsa_exception_int_div_zero 0
	.end_amdhsa_kernel
	.section	.text._Z30fast_hadamard_transform_kernelI37fast_hadamard_transform_kernel_traitsILi256ELi13E6__halfEEv18HadamardParamsBase,"axG",@progbits,_Z30fast_hadamard_transform_kernelI37fast_hadamard_transform_kernel_traitsILi256ELi13E6__halfEEv18HadamardParamsBase,comdat
.Lfunc_end23:
	.size	_Z30fast_hadamard_transform_kernelI37fast_hadamard_transform_kernel_traitsILi256ELi13E6__halfEEv18HadamardParamsBase, .Lfunc_end23-_Z30fast_hadamard_transform_kernelI37fast_hadamard_transform_kernel_traitsILi256ELi13E6__halfEEv18HadamardParamsBase
                                        ; -- End function
	.set _Z30fast_hadamard_transform_kernelI37fast_hadamard_transform_kernel_traitsILi256ELi13E6__halfEEv18HadamardParamsBase.num_vgpr, 62
	.set _Z30fast_hadamard_transform_kernelI37fast_hadamard_transform_kernel_traitsILi256ELi13E6__halfEEv18HadamardParamsBase.num_agpr, 0
	.set _Z30fast_hadamard_transform_kernelI37fast_hadamard_transform_kernel_traitsILi256ELi13E6__halfEEv18HadamardParamsBase.numbered_sgpr, 20
	.set _Z30fast_hadamard_transform_kernelI37fast_hadamard_transform_kernel_traitsILi256ELi13E6__halfEEv18HadamardParamsBase.num_named_barrier, 0
	.set _Z30fast_hadamard_transform_kernelI37fast_hadamard_transform_kernel_traitsILi256ELi13E6__halfEEv18HadamardParamsBase.private_seg_size, 0
	.set _Z30fast_hadamard_transform_kernelI37fast_hadamard_transform_kernel_traitsILi256ELi13E6__halfEEv18HadamardParamsBase.uses_vcc, 1
	.set _Z30fast_hadamard_transform_kernelI37fast_hadamard_transform_kernel_traitsILi256ELi13E6__halfEEv18HadamardParamsBase.uses_flat_scratch, 0
	.set _Z30fast_hadamard_transform_kernelI37fast_hadamard_transform_kernel_traitsILi256ELi13E6__halfEEv18HadamardParamsBase.has_dyn_sized_stack, 0
	.set _Z30fast_hadamard_transform_kernelI37fast_hadamard_transform_kernel_traitsILi256ELi13E6__halfEEv18HadamardParamsBase.has_recursion, 0
	.set _Z30fast_hadamard_transform_kernelI37fast_hadamard_transform_kernel_traitsILi256ELi13E6__halfEEv18HadamardParamsBase.has_indirect_call, 0
	.section	.AMDGPU.csdata,"",@progbits
; Kernel info:
; codeLenInByte = 8240
; TotalNumSgprs: 22
; NumVgprs: 62
; ScratchSize: 0
; MemoryBound: 0
; FloatMode: 240
; IeeeMode: 1
; LDSByteSize: 0 bytes/workgroup (compile time only)
; SGPRBlocks: 0
; VGPRBlocks: 7
; NumSGPRsForWavesPerEU: 22
; NumVGPRsForWavesPerEU: 62
; Occupancy: 16
; WaveLimiterHint : 0
; COMPUTE_PGM_RSRC2:SCRATCH_EN: 0
; COMPUTE_PGM_RSRC2:USER_SGPR: 6
; COMPUTE_PGM_RSRC2:TRAP_HANDLER: 0
; COMPUTE_PGM_RSRC2:TGID_X_EN: 1
; COMPUTE_PGM_RSRC2:TGID_Y_EN: 0
; COMPUTE_PGM_RSRC2:TGID_Z_EN: 0
; COMPUTE_PGM_RSRC2:TIDIG_COMP_CNT: 0
	.section	.text._Z30fast_hadamard_transform_kernelI37fast_hadamard_transform_kernel_traitsILi256ELi14E6__halfEEv18HadamardParamsBase,"axG",@progbits,_Z30fast_hadamard_transform_kernelI37fast_hadamard_transform_kernel_traitsILi256ELi14E6__halfEEv18HadamardParamsBase,comdat
	.protected	_Z30fast_hadamard_transform_kernelI37fast_hadamard_transform_kernel_traitsILi256ELi14E6__halfEEv18HadamardParamsBase ; -- Begin function _Z30fast_hadamard_transform_kernelI37fast_hadamard_transform_kernel_traitsILi256ELi14E6__halfEEv18HadamardParamsBase
	.globl	_Z30fast_hadamard_transform_kernelI37fast_hadamard_transform_kernel_traitsILi256ELi14E6__halfEEv18HadamardParamsBase
	.p2align	8
	.type	_Z30fast_hadamard_transform_kernelI37fast_hadamard_transform_kernel_traitsILi256ELi14E6__halfEEv18HadamardParamsBase,@function
_Z30fast_hadamard_transform_kernelI37fast_hadamard_transform_kernel_traitsILi256ELi14E6__halfEEv18HadamardParamsBase: ; @_Z30fast_hadamard_transform_kernelI37fast_hadamard_transform_kernel_traitsILi256ELi14E6__halfEEv18HadamardParamsBase
; %bb.0:
	s_clause 0x3
	s_load_dwordx4 s[20:23], s[4:5], 0x10
	s_load_dword s7, s[4:5], 0x4
	s_load_dwordx4 s[16:19], s[4:5], 0x28
	s_load_dword s0, s[4:5], 0x44
	s_ashr_i32 s15, s6, 31
	v_lshlrev_b32_e32 v9, 3, v0
	v_mov_b32_e32 v1, 0
	v_mov_b32_e32 v2, 0
	;; [unrolled: 1-line block ×8, first 2 shown]
	v_lshlrev_b32_e32 v71, 4, v0
	v_mov_b32_e32 v10, 0
	s_waitcnt lgkmcnt(0)
	s_mul_hi_u32 s1, s20, s6
	s_mul_i32 s2, s20, s15
	s_mul_i32 s3, s21, s6
	s_add_i32 s1, s1, s2
	s_mul_i32 s2, s20, s6
	s_add_i32 s3, s1, s3
	v_cmp_gt_u32_e64 s8, s7, v9
	s_lshl_b64 s[2:3], s[2:3], 1
	s_add_u32 s10, s16, s2
	s_addc_u32 s11, s17, s3
	s_and_saveexec_b32 s1, s8
	s_cbranch_execz .LBB24_2
; %bb.1:
	global_load_dwordx4 v[11:14], v71, s[10:11]
	s_waitcnt vmcnt(0)
	v_cvt_f32_f16_e32 v10, v11
	v_cvt_f32_f16_sdwa v8, v11 dst_sel:DWORD dst_unused:UNUSED_PAD src0_sel:WORD_1
	v_cvt_f32_f16_e32 v7, v12
	v_cvt_f32_f16_sdwa v6, v12 dst_sel:DWORD dst_unused:UNUSED_PAD src0_sel:WORD_1
	;; [unrolled: 2-line block ×4, first 2 shown]
.LBB24_2:
	s_or_b32 exec_lo, exec_lo, s1
	s_and_b32 s12, 0xffff, s0
	v_mov_b32_e32 v9, 0
	v_add_nc_u32_e32 v15, s12, v0
	v_mov_b32_e32 v11, 0
	v_mov_b32_e32 v12, 0
	;; [unrolled: 1-line block ×4, first 2 shown]
	v_lshlrev_b32_e32 v16, 3, v15
	v_mov_b32_e32 v18, 0
	v_lshlrev_b32_e32 v67, 4, v15
	v_mov_b32_e32 v19, 0
	v_cmp_gt_u32_e64 s2, s7, v16
	s_and_saveexec_b32 s0, s2
	s_cbranch_execz .LBB24_4
; %bb.3:
	global_load_dwordx4 v[20:23], v67, s[10:11]
	s_waitcnt vmcnt(0)
	v_cvt_f32_f16_e32 v19, v20
	v_cvt_f32_f16_sdwa v18, v20 dst_sel:DWORD dst_unused:UNUSED_PAD src0_sel:WORD_1
	v_cvt_f32_f16_e32 v14, v21
	v_cvt_f32_f16_sdwa v13, v21 dst_sel:DWORD dst_unused:UNUSED_PAD src0_sel:WORD_1
	v_cvt_f32_f16_e32 v12, v22
	v_cvt_f32_f16_sdwa v11, v22 dst_sel:DWORD dst_unused:UNUSED_PAD src0_sel:WORD_1
	v_cvt_f32_f16_e32 v9, v23
	v_cvt_f32_f16_sdwa v1, v23 dst_sel:DWORD dst_unused:UNUSED_PAD src0_sel:WORD_1
.LBB24_4:
	s_or_b32 exec_lo, exec_lo, s0
	v_add_nc_u32_e32 v24, s12, v15
	v_mov_b32_e32 v15, 0
	v_mov_b32_e32 v16, 0
	;; [unrolled: 1-line block ×4, first 2 shown]
	v_lshlrev_b32_e32 v25, 3, v24
	v_mov_b32_e32 v21, 0
	v_mov_b32_e32 v22, 0
	;; [unrolled: 1-line block ×3, first 2 shown]
	v_lshlrev_b32_e32 v65, 4, v24
	v_cmp_gt_u32_e64 s0, s7, v25
	v_mov_b32_e32 v25, 0
	v_mov_b32_e32 v26, 0
	s_and_saveexec_b32 s1, s0
	s_cbranch_execz .LBB24_6
; %bb.5:
	global_load_dwordx4 v[27:30], v65, s[10:11]
	s_waitcnt vmcnt(0)
	v_cvt_f32_f16_e32 v26, v27
	v_cvt_f32_f16_sdwa v25, v27 dst_sel:DWORD dst_unused:UNUSED_PAD src0_sel:WORD_1
	v_cvt_f32_f16_e32 v23, v28
	v_cvt_f32_f16_sdwa v22, v28 dst_sel:DWORD dst_unused:UNUSED_PAD src0_sel:WORD_1
	;; [unrolled: 2-line block ×4, first 2 shown]
.LBB24_6:
	s_or_b32 exec_lo, exec_lo, s1
	v_add_nc_u32_e32 v31, s12, v24
	v_mov_b32_e32 v24, 0
	v_mov_b32_e32 v27, 0
	;; [unrolled: 1-line block ×4, first 2 shown]
	v_lshlrev_b32_e32 v32, 3, v31
	v_mov_b32_e32 v30, 0
	v_mov_b32_e32 v34, 0
	v_lshlrev_b32_e32 v64, 4, v31
	v_mov_b32_e32 v35, 0
	v_cmp_gt_u32_e32 vcc_lo, s7, v32
	s_and_saveexec_b32 s1, vcc_lo
	s_cbranch_execz .LBB24_8
; %bb.7:
	global_load_dwordx4 v[36:39], v64, s[10:11]
	s_waitcnt vmcnt(0)
	v_cvt_f32_f16_e32 v35, v36
	v_cvt_f32_f16_sdwa v34, v36 dst_sel:DWORD dst_unused:UNUSED_PAD src0_sel:WORD_1
	v_cvt_f32_f16_e32 v30, v37
	v_cvt_f32_f16_sdwa v29, v37 dst_sel:DWORD dst_unused:UNUSED_PAD src0_sel:WORD_1
	;; [unrolled: 2-line block ×4, first 2 shown]
.LBB24_8:
	s_or_b32 exec_lo, exec_lo, s1
	v_add_nc_u32_e32 v40, s12, v31
	v_mov_b32_e32 v31, 0
	v_mov_b32_e32 v32, 0
	;; [unrolled: 1-line block ×4, first 2 shown]
	v_lshlrev_b32_e32 v41, 3, v40
	v_mov_b32_e32 v37, 0
	v_mov_b32_e32 v38, 0
	;; [unrolled: 1-line block ×3, first 2 shown]
	v_lshlrev_b32_e32 v66, 4, v40
	v_cmp_gt_u32_e64 s1, s7, v41
	v_mov_b32_e32 v41, 0
	v_mov_b32_e32 v42, 0
	s_and_saveexec_b32 s3, s1
	s_cbranch_execz .LBB24_10
; %bb.9:
	global_load_dwordx4 v[43:46], v66, s[10:11]
	s_waitcnt vmcnt(0)
	v_cvt_f32_f16_e32 v42, v43
	v_cvt_f32_f16_sdwa v41, v43 dst_sel:DWORD dst_unused:UNUSED_PAD src0_sel:WORD_1
	v_cvt_f32_f16_e32 v39, v44
	v_cvt_f32_f16_sdwa v38, v44 dst_sel:DWORD dst_unused:UNUSED_PAD src0_sel:WORD_1
	;; [unrolled: 2-line block ×4, first 2 shown]
.LBB24_10:
	s_or_b32 exec_lo, exec_lo, s3
	v_add_nc_u32_e32 v47, s12, v40
	v_mov_b32_e32 v40, 0
	v_mov_b32_e32 v43, 0
	;; [unrolled: 1-line block ×4, first 2 shown]
	v_lshlrev_b32_e32 v48, 3, v47
	v_mov_b32_e32 v46, 0
	v_mov_b32_e32 v50, 0
	v_lshlrev_b32_e32 v68, 4, v47
	v_mov_b32_e32 v51, 0
	v_cmp_gt_u32_e64 s3, s7, v48
	s_and_saveexec_b32 s9, s3
	s_cbranch_execz .LBB24_12
; %bb.11:
	global_load_dwordx4 v[52:55], v68, s[10:11]
	s_waitcnt vmcnt(0)
	v_cvt_f32_f16_e32 v51, v52
	v_cvt_f32_f16_sdwa v50, v52 dst_sel:DWORD dst_unused:UNUSED_PAD src0_sel:WORD_1
	v_cvt_f32_f16_e32 v46, v53
	v_cvt_f32_f16_sdwa v45, v53 dst_sel:DWORD dst_unused:UNUSED_PAD src0_sel:WORD_1
	;; [unrolled: 2-line block ×4, first 2 shown]
.LBB24_12:
	s_or_b32 exec_lo, exec_lo, s9
	v_add_nc_u32_e32 v56, s12, v47
	v_mov_b32_e32 v47, 0
	v_mov_b32_e32 v48, 0
	;; [unrolled: 1-line block ×4, first 2 shown]
	v_lshlrev_b32_e32 v57, 3, v56
	v_mov_b32_e32 v53, 0
	v_mov_b32_e32 v54, 0
	;; [unrolled: 1-line block ×3, first 2 shown]
	v_lshlrev_b32_e32 v69, 4, v56
	v_cmp_gt_u32_e64 s9, s7, v57
	v_mov_b32_e32 v57, 0
	v_mov_b32_e32 v58, 0
	s_and_saveexec_b32 s13, s9
	s_cbranch_execz .LBB24_14
; %bb.13:
	global_load_dwordx4 v[59:62], v69, s[10:11]
	s_waitcnt vmcnt(0)
	v_cvt_f32_f16_e32 v58, v59
	v_cvt_f32_f16_sdwa v57, v59 dst_sel:DWORD dst_unused:UNUSED_PAD src0_sel:WORD_1
	v_cvt_f32_f16_e32 v55, v60
	v_cvt_f32_f16_sdwa v54, v60 dst_sel:DWORD dst_unused:UNUSED_PAD src0_sel:WORD_1
	;; [unrolled: 2-line block ×4, first 2 shown]
.LBB24_14:
	s_or_b32 exec_lo, exec_lo, s13
	v_add_nc_u32_e32 v70, s12, v56
	v_mov_b32_e32 v56, 0
	v_mov_b32_e32 v59, 0
	;; [unrolled: 1-line block ×4, first 2 shown]
	v_lshlrev_b32_e32 v72, 3, v70
	v_mov_b32_e32 v62, 0
	v_mov_b32_e32 v63, 0
	v_lshlrev_b32_e32 v70, 4, v70
	v_cmp_gt_u32_e64 s7, s7, v72
	v_mov_b32_e32 v72, 0
	s_and_saveexec_b32 s12, s7
	s_cbranch_execz .LBB24_16
; %bb.15:
	global_load_dwordx4 v[73:76], v70, s[10:11]
	s_waitcnt vmcnt(0)
	v_cvt_f32_f16_e32 v72, v73
	v_cvt_f32_f16_sdwa v63, v73 dst_sel:DWORD dst_unused:UNUSED_PAD src0_sel:WORD_1
	v_cvt_f32_f16_e32 v62, v74
	v_cvt_f32_f16_sdwa v61, v74 dst_sel:DWORD dst_unused:UNUSED_PAD src0_sel:WORD_1
	;; [unrolled: 2-line block ×4, first 2 shown]
.LBB24_16:
	s_or_b32 exec_lo, exec_lo, s12
	v_add_f32_e32 v73, v8, v10
	v_sub_f32_e32 v8, v10, v8
	v_add_f32_e32 v10, v18, v19
	v_sub_f32_e32 v18, v19, v18
	;; [unrolled: 2-line block ×63, first 2 shown]
	v_add_f32_e32 v52, v47, v59
	v_add_f32_e32 v74, v11, v18
	v_sub_f32_e32 v11, v18, v11
	v_add_f32_e32 v18, v20, v25
	v_sub_f32_e32 v20, v25, v20
	;; [unrolled: 2-line block ×8, first 2 shown]
	v_mbcnt_lo_u32_b32 v3, -1, 0
	v_sub_f32_e32 v47, v59, v47
	v_add_f32_e32 v59, v56, v63
	v_sub_f32_e32 v56, v56, v63
	v_add_f32_e32 v63, v62, v73
	;; [unrolled: 2-line block ×10, first 2 shown]
	v_sub_f32_e32 v8, v8, v2
	v_xor_b32_e32 v2, 1, v3
	v_add_f32_e32 v75, v9, v14
	v_sub_f32_e32 v9, v14, v9
	v_add_f32_e32 v14, v17, v23
	v_sub_f32_e32 v17, v23, v17
	v_cmp_gt_i32_e64 s10, 32, v2
	v_add_f32_e32 v23, v24, v30
	v_sub_f32_e32 v24, v30, v24
	v_add_f32_e32 v30, v33, v39
	v_sub_f32_e32 v33, v39, v33
	v_cndmask_b32_e64 v2, v3, v2, s10
	v_add_f32_e32 v39, v40, v46
	v_sub_f32_e32 v40, v46, v40
	v_add_f32_e32 v46, v49, v55
	v_sub_f32_e32 v49, v55, v49
	v_lshlrev_b32_e32 v2, 2, v2
	v_add_f32_e32 v55, v6, v4
	v_sub_f32_e32 v4, v6, v4
	v_add_f32_e32 v6, v1, v13
	v_sub_f32_e32 v1, v13, v1
	ds_bpermute_b32 v13, v2, v59
	v_add_f32_e32 v76, v16, v22
	v_sub_f32_e32 v16, v22, v16
	v_add_f32_e32 v22, v15, v29
	v_sub_f32_e32 v15, v29, v15
	;; [unrolled: 2-line block ×4, first 2 shown]
	v_and_b32_e32 v45, 1, v0
	ds_bpermute_b32 v77, v2, v51
	ds_bpermute_b32 v78, v2, v57
	;; [unrolled: 1-line block ×4, first 2 shown]
	v_cmp_eq_u32_e64 s12, 0, v45
	ds_bpermute_b32 v80, v2, v56
	ds_bpermute_b32 v81, v2, v4
	;; [unrolled: 1-line block ×4, first 2 shown]
	v_cndmask_b32_e64 v45, -v59, v59, s12
	v_add_f32_e32 v59, v48, v54
	v_sub_f32_e32 v48, v54, v48
	v_add_f32_e32 v54, v47, v61
	v_sub_f32_e32 v47, v61, v47
	s_waitcnt lgkmcnt(8)
	v_add_f32_e32 v13, v45, v13
	v_cndmask_b32_e64 v45, -v51, v51, s12
	v_cndmask_b32_e64 v51, -v57, v57, s12
	ds_bpermute_b32 v57, v2, v53
	ds_bpermute_b32 v61, v2, v60
	v_cndmask_b32_e64 v55, -v55, v55, s12
	s_waitcnt lgkmcnt(9)
	v_add_f32_e32 v45, v45, v77
	v_cndmask_b32_e64 v53, -v53, v53, s12
	v_cndmask_b32_e64 v60, -v60, v60, s12
	ds_bpermute_b32 v77, v2, v72
	v_cndmask_b32_e64 v63, -v63, v63, s12
	v_cndmask_b32_e64 v56, -v56, v56, s12
	s_waitcnt lgkmcnt(9)
	v_add_f32_e32 v51, v51, v78
	s_waitcnt lgkmcnt(8)
	v_add_f32_e32 v55, v55, v79
	v_cndmask_b32_e64 v4, -v4, v4, s12
	ds_bpermute_b32 v78, v2, v6
	ds_bpermute_b32 v79, v2, v62
	s_waitcnt lgkmcnt(8)
	v_add_f32_e32 v56, v56, v80
	ds_bpermute_b32 v80, v2, v8
	s_waitcnt lgkmcnt(8)
	v_add_f32_e32 v4, v4, v81
	ds_bpermute_b32 v81, v2, v73
	v_cndmask_b32_e64 v6, -v6, v6, s12
	v_cndmask_b32_e64 v62, -v62, v62, s12
	s_waitcnt lgkmcnt(6)
	v_add_f32_e32 v53, v53, v57
	s_waitcnt lgkmcnt(5)
	v_add_f32_e32 v57, v60, v61
	v_add_f32_e32 v60, v63, v82
	v_cndmask_b32_e64 v61, -v72, v72, s12
	ds_bpermute_b32 v63, v2, v7
	ds_bpermute_b32 v72, v2, v1
	;; [unrolled: 1-line block ×3, first 2 shown]
	v_cndmask_b32_e64 v7, -v7, v7, s12
	s_waitcnt lgkmcnt(7)
	v_add_f32_e32 v61, v61, v77
	v_cndmask_b32_e64 v1, -v1, v1, s12
	ds_bpermute_b32 v77, v2, v76
	v_cndmask_b32_e64 v8, -v8, v8, s12
	s_waitcnt lgkmcnt(7)
	v_add_f32_e32 v6, v6, v78
	s_waitcnt lgkmcnt(6)
	v_add_f32_e32 v62, v62, v79
	v_cndmask_b32_e64 v73, -v73, v73, s12
	ds_bpermute_b32 v78, v2, v5
	ds_bpermute_b32 v79, v2, v11
	v_cndmask_b32_e64 v74, -v74, v74, s12
	v_cndmask_b32_e64 v75, -v75, v75, s12
	s_waitcnt lgkmcnt(7)
	v_add_f32_e32 v8, v8, v80
	ds_bpermute_b32 v80, v2, v9
	v_cndmask_b32_e64 v5, -v5, v5, s12
	v_cndmask_b32_e64 v11, -v11, v11, s12
	;; [unrolled: 1-line block ×3, first 2 shown]
	s_waitcnt lgkmcnt(6)
	v_add_f32_e32 v7, v7, v63
	s_waitcnt lgkmcnt(5)
	v_add_f32_e32 v63, v1, v72
	v_cndmask_b32_e64 v1, -v76, v76, s12
	ds_bpermute_b32 v76, v2, v10
	v_add_f32_e32 v72, v73, v81
	s_waitcnt lgkmcnt(5)
	v_add_f32_e32 v73, v74, v82
	v_add_f32_e32 v74, v75, v84
	ds_bpermute_b32 v75, v2, v16
	ds_bpermute_b32 v81, v2, v18
	s_waitcnt lgkmcnt(6)
	v_add_f32_e32 v77, v1, v77
	v_cndmask_b32_e64 v1, -v16, v16, s12
	v_cndmask_b32_e64 v10, -v10, v10, s12
	;; [unrolled: 1-line block ×3, first 2 shown]
	ds_bpermute_b32 v18, v2, v12
	s_waitcnt lgkmcnt(6)
	v_add_f32_e32 v5, v5, v78
	s_waitcnt lgkmcnt(5)
	v_add_f32_e32 v11, v11, v79
	ds_bpermute_b32 v78, v2, v20
	ds_bpermute_b32 v79, v2, v17
	s_waitcnt lgkmcnt(6)
	v_add_f32_e32 v9, v9, v80
	ds_bpermute_b32 v80, v2, v15
	v_cndmask_b32_e64 v17, -v17, v17, s12
	v_cndmask_b32_e64 v15, -v15, v15, s12
	ds_bpermute_b32 v82, v2, v14
	s_waitcnt lgkmcnt(7)
	v_add_f32_e32 v10, v10, v76
	ds_bpermute_b32 v76, v2, v25
	v_cndmask_b32_e64 v14, -v14, v14, s12
	ds_bpermute_b32 v84, v2, v21
	s_waitcnt lgkmcnt(8)
	v_add_f32_e32 v75, v1, v75
	s_waitcnt lgkmcnt(7)
	v_add_f32_e32 v16, v16, v81
	v_cndmask_b32_e64 v1, -v12, v12, s12
	v_cndmask_b32_e64 v12, -v20, v20, s12
	ds_bpermute_b32 v20, v2, v19
	ds_bpermute_b32 v81, v2, v23
	v_cndmask_b32_e64 v23, -v23, v23, s12
	s_waitcnt lgkmcnt(8)
	v_add_f32_e32 v18, v1, v18
	v_cndmask_b32_e64 v1, -v19, v19, s12
	v_cndmask_b32_e64 v19, -v25, v25, s12
	ds_bpermute_b32 v25, v2, v27
	s_waitcnt lgkmcnt(8)
	v_add_f32_e32 v12, v12, v78
	s_waitcnt lgkmcnt(7)
	v_add_f32_e32 v17, v17, v79
	ds_bpermute_b32 v78, v2, v24
	ds_bpermute_b32 v79, v2, v32
	s_waitcnt lgkmcnt(8)
	v_add_f32_e32 v15, v15, v80
	ds_bpermute_b32 v80, v2, v26
	s_waitcnt lgkmcnt(7)
	v_add_f32_e32 v19, v19, v76
	ds_bpermute_b32 v76, v2, v30
	v_cndmask_b32_e64 v24, -v24, v24, s12
	v_cndmask_b32_e64 v32, -v32, v32, s12
	;; [unrolled: 1-line block ×4, first 2 shown]
	v_add_f32_e32 v14, v14, v82
	s_waitcnt lgkmcnt(6)
	v_add_f32_e32 v20, v1, v20
	s_waitcnt lgkmcnt(5)
	v_add_f32_e32 v23, v23, v81
	v_cndmask_b32_e64 v1, -v27, v27, s12
	ds_bpermute_b32 v27, v2, v34
	ds_bpermute_b32 v81, v2, v38
	ds_bpermute_b32 v82, v2, v29
	v_cndmask_b32_e64 v58, -v58, v58, s12
	s_waitcnt lgkmcnt(7)
	v_add_f32_e32 v25, v1, v25
	v_cndmask_b32_e64 v1, -v34, v34, s12
	v_cndmask_b32_e64 v34, -v38, v38, s12
	ds_bpermute_b32 v38, v2, v33
	s_waitcnt lgkmcnt(7)
	v_add_f32_e32 v24, v24, v78
	s_waitcnt lgkmcnt(6)
	v_add_f32_e32 v32, v32, v79
	ds_bpermute_b32 v78, v2, v31
	ds_bpermute_b32 v79, v2, v35
	s_waitcnt lgkmcnt(6)
	v_add_f32_e32 v30, v30, v76
	ds_bpermute_b32 v76, v2, v59
	v_add_f32_e32 v26, v26, v80
	ds_bpermute_b32 v80, v2, v41
	v_cndmask_b32_e64 v31, -v31, v31, s12
	v_cndmask_b32_e64 v35, -v35, v35, s12
	v_add_f32_e32 v58, v58, v83
	ds_bpermute_b32 v83, v2, v22
	s_waitcnt lgkmcnt(8)
	v_add_f32_e32 v27, v1, v27
	s_waitcnt lgkmcnt(7)
	v_add_f32_e32 v34, v34, v81
	v_cndmask_b32_e64 v1, -v33, v33, s12
	ds_bpermute_b32 v33, v2, v39
	ds_bpermute_b32 v81, v2, v37
	v_cndmask_b32_e64 v21, -v21, v21, s12
	v_cndmask_b32_e64 v41, -v41, v41, s12
	s_waitcnt lgkmcnt(7)
	v_add_f32_e32 v38, v1, v38
	v_cndmask_b32_e64 v1, -v39, v39, s12
	v_cndmask_b32_e64 v39, -v59, v59, s12
	ds_bpermute_b32 v59, v2, v48
	s_waitcnt lgkmcnt(7)
	v_add_f32_e32 v31, v31, v78
	s_waitcnt lgkmcnt(6)
	v_add_f32_e32 v35, v35, v79
	v_cndmask_b32_e64 v37, -v37, v37, s12
	ds_bpermute_b32 v78, v2, v42
	ds_bpermute_b32 v79, v2, v50
	s_waitcnt lgkmcnt(7)
	v_add_f32_e32 v39, v39, v76
	v_xor_b32_e32 v76, 2, v3
	v_cndmask_b32_e64 v29, -v29, v29, s12
	v_add_f32_e32 v21, v21, v84
	ds_bpermute_b32 v84, v2, v40
	s_waitcnt lgkmcnt(7)
	v_add_f32_e32 v41, v41, v80
	ds_bpermute_b32 v80, v2, v54
	s_waitcnt lgkmcnt(6)
	v_add_f32_e32 v33, v1, v33
	s_waitcnt lgkmcnt(5)
	v_add_f32_e32 v37, v37, v81
	v_cndmask_b32_e64 v1, -v48, v48, s12
	ds_bpermute_b32 v48, v2, v46
	ds_bpermute_b32 v81, v2, v44
	v_cmp_gt_i32_e64 s10, 32, v76
	v_add_f32_e32 v29, v29, v82
	ds_bpermute_b32 v82, v2, v28
	v_cndmask_b32_e64 v22, -v22, v22, s12
	v_cndmask_b32_e64 v42, -v42, v42, s12
	v_cndmask_b32_e64 v76, v3, v76, s10
	v_cndmask_b32_e64 v50, -v50, v50, s12
	s_waitcnt lgkmcnt(7)
	v_add_f32_e32 v59, v1, v59
	v_add_f32_e32 v22, v22, v83
	ds_bpermute_b32 v83, v2, v36
	v_lshlrev_b32_e32 v1, 2, v76
	v_cndmask_b32_e64 v40, -v40, v40, s12
	s_waitcnt lgkmcnt(7)
	v_add_f32_e32 v42, v42, v78
	s_waitcnt lgkmcnt(6)
	v_add_f32_e32 v50, v50, v79
	v_cndmask_b32_e64 v46, -v46, v46, s12
	v_cndmask_b32_e64 v54, -v54, v54, s12
	ds_bpermute_b32 v76, v2, v49
	ds_bpermute_b32 v78, v2, v47
	;; [unrolled: 1-line block ×3, first 2 shown]
	v_cndmask_b32_e64 v44, -v44, v44, s12
	v_cndmask_b32_e64 v28, -v28, v28, s12
	s_waitcnt lgkmcnt(8)
	v_add_f32_e32 v40, v40, v84
	v_and_b32_e32 v84, 2, v0
	s_waitcnt lgkmcnt(6)
	v_add_f32_e32 v46, v46, v48
	v_add_f32_e32 v48, v54, v80
	s_waitcnt lgkmcnt(5)
	v_add_f32_e32 v44, v44, v81
	ds_bpermute_b32 v54, v1, v51
	ds_bpermute_b32 v80, v1, v55
	;; [unrolled: 1-line block ×3, first 2 shown]
	s_waitcnt lgkmcnt(7)
	v_add_f32_e32 v28, v28, v82
	ds_bpermute_b32 v82, v2, v43
	v_cmp_eq_u32_e64 s10, 0, v84
	v_cndmask_b32_e64 v36, -v36, v36, s12
	v_cndmask_b32_e64 v49, -v49, v49, s12
	;; [unrolled: 1-line block ×5, first 2 shown]
	s_waitcnt lgkmcnt(7)
	v_add_f32_e32 v36, v36, v83
	ds_bpermute_b32 v83, v1, v45
	s_waitcnt lgkmcnt(7)
	v_add_f32_e32 v49, v49, v76
	s_waitcnt lgkmcnt(6)
	v_add_f32_e32 v47, v47, v78
	s_waitcnt lgkmcnt(5)
	v_add_f32_e32 v13, v13, v79
	v_cndmask_b32_e64 v51, -v51, v51, s10
	ds_bpermute_b32 v76, v1, v57
	ds_bpermute_b32 v78, v1, v4
	;; [unrolled: 1-line block ×3, first 2 shown]
	v_cndmask_b32_e64 v55, -v55, v55, s10
	v_cndmask_b32_e64 v56, -v56, v56, s10
	s_waitcnt lgkmcnt(7)
	v_add_f32_e32 v51, v51, v54
	v_cndmask_b32_e64 v45, -v45, v45, s10
	s_waitcnt lgkmcnt(4)
	v_add_f32_e32 v43, v43, v82
	v_add_f32_e32 v54, v55, v80
	;; [unrolled: 1-line block ×3, first 2 shown]
	ds_bpermute_b32 v56, v1, v61
	ds_bpermute_b32 v80, v1, v6
	;; [unrolled: 1-line block ×4, first 2 shown]
	v_cndmask_b32_e64 v57, -v57, v57, s10
	v_cndmask_b32_e64 v4, -v4, v4, s10
	;; [unrolled: 1-line block ×3, first 2 shown]
	s_waitcnt lgkmcnt(7)
	v_add_f32_e32 v45, v45, v83
	ds_bpermute_b32 v83, v1, v8
	v_cndmask_b32_e64 v61, -v61, v61, s10
	s_waitcnt lgkmcnt(7)
	v_add_f32_e32 v57, v57, v76
	s_waitcnt lgkmcnt(6)
	v_add_f32_e32 v4, v4, v78
	;; [unrolled: 2-line block ×3, first 2 shown]
	ds_bpermute_b32 v76, v1, v7
	ds_bpermute_b32 v78, v1, v63
	;; [unrolled: 1-line block ×3, first 2 shown]
	v_cndmask_b32_e64 v6, -v6, v6, s10
	v_cndmask_b32_e64 v62, -v62, v62, s10
	;; [unrolled: 1-line block ×4, first 2 shown]
	s_waitcnt lgkmcnt(7)
	v_add_f32_e32 v56, v61, v56
	s_waitcnt lgkmcnt(6)
	v_add_f32_e32 v6, v6, v80
	;; [unrolled: 2-line block ×3, first 2 shown]
	ds_bpermute_b32 v62, v1, v74
	ds_bpermute_b32 v80, v1, v77
	;; [unrolled: 1-line block ×3, first 2 shown]
	s_waitcnt lgkmcnt(7)
	v_add_f32_e32 v52, v52, v82
	ds_bpermute_b32 v82, v1, v58
	v_cndmask_b32_e64 v7, -v7, v7, s10
	v_cndmask_b32_e64 v63, -v63, v63, s10
	;; [unrolled: 1-line block ×3, first 2 shown]
	s_waitcnt lgkmcnt(7)
	v_add_f32_e32 v8, v8, v83
	v_cndmask_b32_e64 v74, -v74, v74, s10
	s_waitcnt lgkmcnt(6)
	v_add_f32_e32 v7, v7, v76
	s_waitcnt lgkmcnt(5)
	v_add_f32_e32 v63, v63, v78
	;; [unrolled: 2-line block ×3, first 2 shown]
	ds_bpermute_b32 v76, v1, v9
	ds_bpermute_b32 v78, v1, v75
	;; [unrolled: 1-line block ×4, first 2 shown]
	v_cndmask_b32_e64 v77, -v77, v77, s10
	v_cndmask_b32_e64 v5, -v5, v5, s10
	;; [unrolled: 1-line block ×3, first 2 shown]
	s_waitcnt lgkmcnt(7)
	v_add_f32_e32 v62, v74, v62
	v_cndmask_b32_e64 v9, -v9, v9, s10
	s_waitcnt lgkmcnt(6)
	v_add_f32_e32 v74, v77, v80
	s_waitcnt lgkmcnt(5)
	v_add_f32_e32 v5, v5, v81
	ds_bpermute_b32 v80, v1, v22
	ds_bpermute_b32 v81, v1, v18
	s_waitcnt lgkmcnt(6)
	v_add_f32_e32 v58, v58, v82
	ds_bpermute_b32 v82, v1, v73
	ds_bpermute_b32 v77, v1, v14
	v_cndmask_b32_e64 v75, -v75, v75, s10
	v_cndmask_b32_e64 v10, -v10, v10, s10
	;; [unrolled: 1-line block ×4, first 2 shown]
	s_waitcnt lgkmcnt(7)
	v_add_f32_e32 v9, v9, v76
	s_waitcnt lgkmcnt(6)
	v_add_f32_e32 v75, v75, v78
	;; [unrolled: 2-line block ×4, first 2 shown]
	ds_bpermute_b32 v16, v1, v17
	ds_bpermute_b32 v78, v1, v15
	ds_bpermute_b32 v79, v1, v20
	v_cndmask_b32_e64 v18, -v18, v18, s10
	v_cndmask_b32_e64 v73, -v73, v73, s10
	;; [unrolled: 1-line block ×4, first 2 shown]
	s_waitcnt lgkmcnt(6)
	v_add_f32_e32 v22, v22, v80
	s_waitcnt lgkmcnt(5)
	v_add_f32_e32 v18, v18, v81
	ds_bpermute_b32 v80, v1, v29
	ds_bpermute_b32 v81, v1, v21
	s_waitcnt lgkmcnt(6)
	v_add_f32_e32 v73, v73, v82
	ds_bpermute_b32 v82, v1, v12
	s_waitcnt lgkmcnt(6)
	v_add_f32_e32 v14, v14, v77
	ds_bpermute_b32 v77, v1, v23
	v_cndmask_b32_e64 v15, -v15, v15, s10
	v_cndmask_b32_e64 v20, -v20, v20, s10
	;; [unrolled: 1-line block ×5, first 2 shown]
	s_waitcnt lgkmcnt(6)
	v_add_f32_e32 v17, v17, v16
	s_waitcnt lgkmcnt(5)
	v_add_f32_e32 v15, v15, v78
	s_waitcnt lgkmcnt(4)
	v_add_f32_e32 v20, v20, v79
	v_cndmask_b32_e64 v16, -v23, v23, s10
	ds_bpermute_b32 v23, v1, v24
	ds_bpermute_b32 v78, v1, v32
	;; [unrolled: 1-line block ×4, first 2 shown]
	v_cndmask_b32_e64 v24, -v24, v24, s10
	s_waitcnt lgkmcnt(7)
	v_add_f32_e32 v29, v29, v80
	s_waitcnt lgkmcnt(6)
	v_add_f32_e32 v21, v21, v81
	ds_bpermute_b32 v80, v1, v34
	ds_bpermute_b32 v81, v1, v28
	s_waitcnt lgkmcnt(7)
	v_add_f32_e32 v12, v12, v82
	ds_bpermute_b32 v82, v1, v27
	s_waitcnt lgkmcnt(7)
	v_add_f32_e32 v77, v16, v77
	ds_bpermute_b32 v16, v1, v30
	v_cndmask_b32_e64 v32, -v32, v32, s10
	v_cndmask_b32_e64 v26, -v26, v26, s10
	ds_bpermute_b32 v84, v1, v53
	v_cndmask_b32_e64 v34, -v34, v34, s10
	v_cndmask_b32_e64 v28, -v28, v28, s10
	;; [unrolled: 1-line block ×4, first 2 shown]
	s_waitcnt lgkmcnt(8)
	v_add_f32_e32 v23, v24, v23
	s_waitcnt lgkmcnt(7)
	v_add_f32_e32 v24, v32, v78
	;; [unrolled: 2-line block ×3, first 2 shown]
	ds_bpermute_b32 v32, v1, v38
	ds_bpermute_b32 v78, v1, v31
	;; [unrolled: 1-line block ×3, first 2 shown]
	v_cndmask_b32_e64 v30, -v30, v30, s10
	s_waitcnt lgkmcnt(7)
	v_add_f32_e32 v34, v34, v80
	s_waitcnt lgkmcnt(6)
	v_add_f32_e32 v28, v28, v81
	ds_bpermute_b32 v80, v1, v39
	ds_bpermute_b32 v81, v1, v37
	v_add_f32_e32 v19, v19, v83
	ds_bpermute_b32 v83, v1, v36
	s_waitcnt lgkmcnt(8)
	v_add_f32_e32 v27, v27, v82
	ds_bpermute_b32 v82, v1, v41
	s_waitcnt lgkmcnt(8)
	v_add_f32_e32 v30, v30, v16
	v_cndmask_b32_e64 v16, -v38, v38, s10
	ds_bpermute_b32 v38, v1, v33
	v_cndmask_b32_e64 v53, -v53, v53, s10
	v_cndmask_b32_e64 v31, -v31, v31, s10
	;; [unrolled: 1-line block ×5, first 2 shown]
	s_waitcnt lgkmcnt(8)
	v_add_f32_e32 v53, v53, v84
	ds_bpermute_b32 v84, v1, v11
	s_waitcnt lgkmcnt(8)
	v_add_f32_e32 v32, v16, v32
	s_waitcnt lgkmcnt(7)
	v_add_f32_e32 v31, v31, v78
	;; [unrolled: 2-line block ×3, first 2 shown]
	v_cndmask_b32_e64 v16, -v33, v33, s10
	v_cndmask_b32_e64 v33, -v39, v39, s10
	ds_bpermute_b32 v39, v1, v40
	ds_bpermute_b32 v78, v1, v59
	;; [unrolled: 1-line block ×3, first 2 shown]
	v_cndmask_b32_e64 v41, -v41, v41, s10
	s_waitcnt lgkmcnt(8)
	v_add_f32_e32 v33, v33, v80
	s_waitcnt lgkmcnt(7)
	v_add_f32_e32 v37, v37, v81
	v_xor_b32_e32 v80, 4, v3
	ds_bpermute_b32 v81, v1, v48
	s_waitcnt lgkmcnt(7)
	v_add_f32_e32 v36, v36, v83
	ds_bpermute_b32 v83, v1, v50
	s_waitcnt lgkmcnt(7)
	v_add_f32_e32 v41, v41, v82
	s_waitcnt lgkmcnt(6)
	v_add_f32_e32 v38, v16, v38
	v_cndmask_b32_e64 v16, -v40, v40, s10
	v_cndmask_b32_e64 v40, -v59, v59, s10
	ds_bpermute_b32 v59, v1, v46
	ds_bpermute_b32 v82, v1, v44
	v_cmp_gt_i32_e64 s11, 32, v80
	v_cndmask_b32_e64 v11, -v11, v11, s10
	v_cndmask_b32_e64 v42, -v42, v42, s10
	;; [unrolled: 1-line block ×3, first 2 shown]
	s_waitcnt lgkmcnt(6)
	v_add_f32_e32 v39, v16, v39
	v_cndmask_b32_e64 v80, v3, v80, s11
	v_add_f32_e32 v11, v11, v84
	ds_bpermute_b32 v84, v1, v25
	s_waitcnt lgkmcnt(6)
	v_add_f32_e32 v40, v40, v78
	s_waitcnt lgkmcnt(5)
	v_add_f32_e32 v42, v42, v79
	ds_bpermute_b32 v78, v1, v52
	v_lshlrev_b32_e32 v16, 2, v80
	ds_bpermute_b32 v79, v1, v49
	v_cndmask_b32_e64 v50, -v50, v50, s10
	v_cndmask_b32_e64 v46, -v46, v46, s10
	ds_bpermute_b32 v80, v1, v47
	v_cndmask_b32_e64 v44, -v44, v44, s10
	s_waitcnt lgkmcnt(7)
	v_add_f32_e32 v48, v48, v81
	ds_bpermute_b32 v81, v16, v45
	s_waitcnt lgkmcnt(7)
	v_add_f32_e32 v50, v50, v83
	ds_bpermute_b32 v83, v16, v13
	s_waitcnt lgkmcnt(7)
	v_add_f32_e32 v46, v46, v59
	v_and_b32_e32 v59, 4, v0
	s_waitcnt lgkmcnt(6)
	v_add_f32_e32 v44, v44, v82
	ds_bpermute_b32 v82, v16, v51
	v_cndmask_b32_e64 v25, -v25, v25, s10
	v_cndmask_b32_e64 v52, -v52, v52, s10
	;; [unrolled: 1-line block ×3, first 2 shown]
	v_cmp_eq_u32_e64 s11, 0, v59
	ds_bpermute_b32 v59, v16, v55
	s_waitcnt lgkmcnt(7)
	v_add_f32_e32 v25, v25, v84
	ds_bpermute_b32 v84, v1, v43
	v_cndmask_b32_e64 v47, -v47, v47, s10
	s_waitcnt lgkmcnt(7)
	v_add_f32_e32 v52, v52, v78
	s_waitcnt lgkmcnt(6)
	v_add_f32_e32 v49, v49, v79
	ds_bpermute_b32 v78, v16, v53
	ds_bpermute_b32 v79, v16, v57
	v_cndmask_b32_e64 v45, -v45, v45, s11
	v_cndmask_b32_e64 v13, -v13, v13, s11
	s_waitcnt lgkmcnt(7)
	v_add_f32_e32 v47, v47, v80
	v_cndmask_b32_e64 v51, -v51, v51, s11
	ds_bpermute_b32 v80, v16, v4
	s_waitcnt lgkmcnt(7)
	v_add_f32_e32 v45, v45, v81
	ds_bpermute_b32 v81, v16, v60
	s_waitcnt lgkmcnt(7)
	v_add_f32_e32 v13, v13, v83
	s_waitcnt lgkmcnt(6)
	v_add_f32_e32 v51, v51, v82
	ds_bpermute_b32 v82, v16, v58
	v_cndmask_b32_e64 v55, -v55, v55, s11
	ds_bpermute_b32 v83, v16, v56
	v_cndmask_b32_e64 v43, -v43, v43, s10
	v_cndmask_b32_e64 v53, -v53, v53, s11
	;; [unrolled: 1-line block ×3, first 2 shown]
	s_waitcnt lgkmcnt(7)
	v_add_f32_e32 v55, v55, v59
	ds_bpermute_b32 v59, v16, v6
	s_waitcnt lgkmcnt(7)
	v_add_f32_e32 v43, v43, v84
	ds_bpermute_b32 v84, v16, v54
	v_cndmask_b32_e64 v4, -v4, v4, s11
	s_waitcnt lgkmcnt(7)
	v_add_f32_e32 v53, v53, v78
	ds_bpermute_b32 v78, v16, v61
	s_waitcnt lgkmcnt(7)
	v_add_f32_e32 v57, v57, v79
	ds_bpermute_b32 v79, v16, v8
	v_cndmask_b32_e64 v60, -v60, v60, s11
	v_cndmask_b32_e64 v58, -v58, v58, s11
	s_waitcnt lgkmcnt(7)
	v_add_f32_e32 v80, v4, v80
	v_cndmask_b32_e64 v4, -v56, v56, s11
	v_cndmask_b32_e64 v54, -v54, v54, s11
	s_waitcnt lgkmcnt(6)
	v_add_f32_e32 v56, v60, v81
	ds_bpermute_b32 v60, v16, v63
	s_waitcnt lgkmcnt(6)
	v_add_f32_e32 v58, v58, v82
	s_waitcnt lgkmcnt(5)
	v_add_f32_e32 v82, v4, v83
	v_cndmask_b32_e64 v4, -v6, v6, s11
	ds_bpermute_b32 v6, v16, v73
	v_cndmask_b32_e64 v61, -v61, v61, s11
	v_cndmask_b32_e64 v8, -v8, v8, s11
	;; [unrolled: 1-line block ×3, first 2 shown]
	s_waitcnt lgkmcnt(5)
	v_add_f32_e32 v59, v4, v59
	ds_bpermute_b32 v4, v16, v62
	s_waitcnt lgkmcnt(5)
	v_add_f32_e32 v54, v54, v84
	ds_bpermute_b32 v84, v16, v7
	;; [unrolled: 3-line block ×4, first 2 shown]
	v_cndmask_b32_e64 v73, -v73, v73, s11
	v_cndmask_b32_e64 v62, -v62, v62, s11
	ds_bpermute_b32 v81, v16, v72
	v_cndmask_b32_e64 v7, -v7, v7, s11
	s_waitcnt lgkmcnt(6)
	v_add_f32_e32 v60, v63, v60
	ds_bpermute_b32 v63, v16, v9
	v_cndmask_b32_e64 v5, -v5, v5, s11
	v_cndmask_b32_e64 v9, -v9, v9, s11
	s_waitcnt lgkmcnt(6)
	v_add_f32_e32 v6, v73, v6
	v_cndmask_b32_e64 v73, -v74, v74, s11
	ds_bpermute_b32 v74, v16, v14
	v_cndmask_b32_e64 v72, -v72, v72, s11
	ds_bpermute_b32 v83, v16, v11
	s_waitcnt lgkmcnt(7)
	v_add_f32_e32 v62, v62, v4
	ds_bpermute_b32 v4, v16, v76
	s_waitcnt lgkmcnt(7)
	v_add_f32_e32 v7, v7, v84
	;; [unrolled: 3-line block ×3, first 2 shown]
	v_cndmask_b32_e64 v76, -v76, v76, s11
	s_waitcnt lgkmcnt(6)
	v_add_f32_e32 v78, v5, v79
	ds_bpermute_b32 v5, v16, v22
	ds_bpermute_b32 v79, v16, v18
	s_waitcnt lgkmcnt(7)
	v_add_f32_e32 v72, v72, v81
	ds_bpermute_b32 v81, v16, v75
	v_cndmask_b32_e64 v10, -v10, v10, s11
	s_waitcnt lgkmcnt(7)
	v_add_f32_e32 v9, v9, v63
	ds_bpermute_b32 v63, v16, v12
	v_cndmask_b32_e64 v14, -v14, v14, s11
	v_cndmask_b32_e64 v22, -v22, v22, s11
	v_cndmask_b32_e64 v18, -v18, v18, s11
	v_cndmask_b32_e64 v11, -v11, v11, s11
	v_cndmask_b32_e64 v75, -v75, v75, s11
	s_waitcnt lgkmcnt(7)
	v_add_f32_e32 v14, v14, v74
	ds_bpermute_b32 v74, v16, v19
	s_waitcnt lgkmcnt(6)
	v_add_f32_e32 v76, v76, v4
	ds_bpermute_b32 v4, v16, v20
	;; [unrolled: 3-line block ×3, first 2 shown]
	v_cndmask_b32_e64 v20, -v20, v20, s11
	v_add_f32_e32 v11, v11, v83
	s_waitcnt lgkmcnt(6)
	v_add_f32_e32 v22, v22, v5
	v_cndmask_b32_e64 v5, -v12, v12, s11
	s_waitcnt lgkmcnt(5)
	v_add_f32_e32 v12, v18, v79
	ds_bpermute_b32 v18, v16, v29
	s_waitcnt lgkmcnt(5)
	v_add_f32_e32 v75, v75, v81
	ds_bpermute_b32 v81, v16, v17
	;; [unrolled: 3-line block ×3, first 2 shown]
	ds_bpermute_b32 v83, v16, v15
	ds_bpermute_b32 v79, v16, v25
	v_cndmask_b32_e64 v19, -v19, v19, s11
	v_cndmask_b32_e64 v77, -v77, v77, s11
	;; [unrolled: 1-line block ×5, first 2 shown]
	s_waitcnt lgkmcnt(6)
	v_add_f32_e32 v20, v20, v4
	ds_bpermute_b32 v4, v16, v24
	v_add_f32_e32 v19, v19, v74
	s_waitcnt lgkmcnt(6)
	v_add_f32_e32 v74, v77, v84
	ds_bpermute_b32 v77, v16, v26
	ds_bpermute_b32 v84, v16, v30
	v_cndmask_b32_e64 v15, -v15, v15, s11
	v_cndmask_b32_e64 v25, -v25, v25, s11
	s_waitcnt lgkmcnt(7)
	v_add_f32_e32 v18, v29, v18
	v_cndmask_b32_e64 v24, -v24, v24, s11
	ds_bpermute_b32 v29, v16, v28
	s_waitcnt lgkmcnt(7)
	v_add_f32_e32 v17, v17, v81
	s_waitcnt lgkmcnt(6)
	v_add_f32_e32 v21, v21, v5
	ds_bpermute_b32 v5, v16, v34
	ds_bpermute_b32 v81, v16, v23
	s_waitcnt lgkmcnt(7)
	v_add_f32_e32 v15, v15, v83
	ds_bpermute_b32 v83, v16, v27
	s_waitcnt lgkmcnt(7)
	v_add_f32_e32 v25, v25, v79
	ds_bpermute_b32 v79, v16, v36
	v_cndmask_b32_e64 v26, -v26, v26, s11
	v_cndmask_b32_e64 v30, -v30, v30, s11
	s_waitcnt lgkmcnt(7)
	v_add_f32_e32 v24, v24, v4
	ds_bpermute_b32 v4, v16, v32
	v_cndmask_b32_e64 v34, -v34, v34, s11
	s_waitcnt lgkmcnt(7)
	v_add_f32_e32 v26, v26, v77
	ds_bpermute_b32 v77, v16, v35
	s_waitcnt lgkmcnt(7)
	v_add_f32_e32 v30, v30, v84
	v_cndmask_b32_e64 v28, -v28, v28, s11
	ds_bpermute_b32 v84, v16, v33
	v_cndmask_b32_e64 v23, -v23, v23, s11
	v_cndmask_b32_e64 v27, -v27, v27, s11
	;; [unrolled: 1-line block ×3, first 2 shown]
	s_waitcnt lgkmcnt(7)
	v_add_f32_e32 v28, v28, v29
	s_waitcnt lgkmcnt(6)
	v_add_f32_e32 v34, v34, v5
	ds_bpermute_b32 v5, v16, v38
	v_cndmask_b32_e64 v29, -v32, v32, s11
	s_waitcnt lgkmcnt(6)
	v_add_f32_e32 v23, v23, v81
	ds_bpermute_b32 v81, v16, v31
	s_waitcnt lgkmcnt(6)
	v_add_f32_e32 v27, v27, v83
	ds_bpermute_b32 v83, v16, v41
	ds_bpermute_b32 v85, v16, v37
	s_waitcnt lgkmcnt(7)
	v_add_f32_e32 v32, v36, v79
	v_cndmask_b32_e64 v35, -v35, v35, s11
	v_cndmask_b32_e64 v36, -v41, v41, s11
	s_waitcnt lgkmcnt(6)
	v_add_f32_e32 v29, v29, v4
	ds_bpermute_b32 v4, v16, v43
	ds_bpermute_b32 v41, v16, v39
	s_waitcnt lgkmcnt(7)
	v_add_f32_e32 v35, v35, v77
	v_cndmask_b32_e64 v38, -v38, v38, s11
	v_cndmask_b32_e64 v33, -v33, v33, s11
	ds_bpermute_b32 v77, v16, v42
	v_cndmask_b32_e64 v31, -v31, v31, s11
	ds_bpermute_b32 v79, v16, v40
	v_cndmask_b32_e64 v37, -v37, v37, s11
	s_waitcnt lgkmcnt(7)
	v_add_f32_e32 v38, v38, v5
	v_add_f32_e32 v33, v33, v84
	v_cndmask_b32_e64 v5, -v43, v43, s11
	ds_bpermute_b32 v43, v16, v50
	v_xor_b32_e32 v84, 8, v3
	v_cndmask_b32_e64 v39, -v39, v39, s11
	s_waitcnt lgkmcnt(7)
	v_add_f32_e32 v31, v31, v81
	s_waitcnt lgkmcnt(5)
	v_add_f32_e32 v37, v37, v85
	ds_bpermute_b32 v81, v16, v46
	v_cmp_gt_i32_e64 s13, 32, v84
	v_cndmask_b32_e64 v42, -v42, v42, s11
	s_waitcnt lgkmcnt(5)
	v_add_f32_e32 v85, v5, v4
	s_waitcnt lgkmcnt(4)
	v_add_f32_e32 v39, v39, v41
	ds_bpermute_b32 v41, v16, v52
	v_cndmask_b32_e64 v4, v3, v84, s13
	v_add_f32_e32 v36, v36, v83
	ds_bpermute_b32 v83, v16, v48
	ds_bpermute_b32 v5, v16, v44
	s_waitcnt lgkmcnt(6)
	v_add_f32_e32 v42, v42, v77
	ds_bpermute_b32 v77, v16, v49
	v_cndmask_b32_e64 v50, -v50, v50, s11
	v_lshlrev_b32_e32 v4, 2, v4
	v_cndmask_b32_e64 v40, -v40, v40, s11
	v_cndmask_b32_e64 v46, -v46, v46, s11
	;; [unrolled: 1-line block ×3, first 2 shown]
	s_waitcnt lgkmcnt(5)
	v_add_f32_e32 v43, v50, v43
	ds_bpermute_b32 v50, v4, v13
	v_add_f32_e32 v40, v40, v79
	ds_bpermute_b32 v79, v16, v47
	v_and_b32_e32 v84, 8, v0
	v_cndmask_b32_e64 v48, -v48, v48, s11
	s_waitcnt lgkmcnt(6)
	v_add_f32_e32 v46, v46, v81
	v_cndmask_b32_e64 v44, -v44, v44, s11
	v_cndmask_b32_e64 v49, -v49, v49, s11
	ds_bpermute_b32 v81, v4, v45
	s_waitcnt lgkmcnt(6)
	v_add_f32_e32 v41, v52, v41
	ds_bpermute_b32 v52, v4, v55
	v_cmp_eq_u32_e64 s13, 0, v84
	s_waitcnt lgkmcnt(6)
	v_add_f32_e32 v48, v48, v83
	ds_bpermute_b32 v83, v4, v51
	s_waitcnt lgkmcnt(6)
	v_add_f32_e32 v44, v44, v5
	v_cndmask_b32_e64 v5, -v47, v47, s11
	v_cndmask_b32_e64 v13, -v13, v13, s13
	s_waitcnt lgkmcnt(5)
	v_add_f32_e32 v47, v49, v77
	ds_bpermute_b32 v49, v4, v53
	v_cndmask_b32_e64 v45, -v45, v45, s13
	v_cndmask_b32_e64 v55, -v55, v55, s13
	s_waitcnt lgkmcnt(5)
	v_add_f32_e32 v13, v13, v50
	v_cndmask_b32_e64 v50, -v51, v51, s13
	ds_bpermute_b32 v51, v4, v80
	s_waitcnt lgkmcnt(5)
	v_add_f32_e32 v5, v5, v79
	ds_bpermute_b32 v79, v4, v56
	ds_bpermute_b32 v77, v4, v57
	v_cndmask_b32_e64 v53, -v53, v53, s13
	s_waitcnt lgkmcnt(6)
	v_add_f32_e32 v45, v45, v81
	ds_bpermute_b32 v81, v4, v58
	s_waitcnt lgkmcnt(6)
	v_add_f32_e32 v52, v55, v52
	v_cndmask_b32_e64 v55, -v57, v57, s13
	ds_bpermute_b32 v57, v4, v59
	ds_bpermute_b32 v84, v4, v61
	s_waitcnt lgkmcnt(7)
	v_add_f32_e32 v50, v50, v83
	ds_bpermute_b32 v83, v4, v82
	v_cndmask_b32_e64 v56, -v56, v56, s13
	ds_bpermute_b32 v86, v4, v54
	s_waitcnt lgkmcnt(8)
	v_add_f32_e32 v49, v53, v49
	v_cndmask_b32_e64 v53, -v80, v80, s13
	v_cndmask_b32_e64 v58, -v58, v58, s13
	ds_bpermute_b32 v80, v4, v7
	v_cndmask_b32_e64 v59, -v59, v59, s13
	v_cndmask_b32_e64 v61, -v61, v61, s13
	s_waitcnt lgkmcnt(8)
	v_add_f32_e32 v51, v53, v51
	ds_bpermute_b32 v53, v4, v8
	s_waitcnt lgkmcnt(8)
	v_add_f32_e32 v56, v56, v79
	ds_bpermute_b32 v79, v4, v6
	s_waitcnt lgkmcnt(8)
	v_add_f32_e32 v55, v55, v77
	v_cndmask_b32_e64 v77, -v82, v82, s13
	ds_bpermute_b32 v82, v4, v60
	s_waitcnt lgkmcnt(8)
	v_add_f32_e32 v58, v58, v81
	ds_bpermute_b32 v81, v4, v62
	s_waitcnt lgkmcnt(8)
	v_add_f32_e32 v57, v59, v57
	s_waitcnt lgkmcnt(7)
	v_add_f32_e32 v59, v61, v84
	ds_bpermute_b32 v61, v4, v73
	s_waitcnt lgkmcnt(7)
	v_add_f32_e32 v77, v77, v83
	v_cndmask_b32_e64 v8, -v8, v8, s13
	ds_bpermute_b32 v83, v4, v78
	v_cndmask_b32_e64 v54, -v54, v54, s13
	v_cndmask_b32_e64 v7, -v7, v7, s13
	ds_bpermute_b32 v84, v4, v11
	v_cndmask_b32_e64 v6, -v6, v6, s13
	v_cndmask_b32_e64 v60, -v60, v60, s13
	s_waitcnt lgkmcnt(8)
	v_add_f32_e32 v54, v54, v86
	s_waitcnt lgkmcnt(6)
	v_add_f32_e32 v53, v8, v53
	ds_bpermute_b32 v8, v4, v9
	ds_bpermute_b32 v86, v4, v72
	v_add_f32_e32 v80, v7, v80
	v_cndmask_b32_e64 v7, -v62, v62, s13
	s_waitcnt lgkmcnt(7)
	v_add_f32_e32 v79, v6, v79
	v_cndmask_b32_e64 v6, -v73, v73, s13
	ds_bpermute_b32 v73, v4, v76
	s_waitcnt lgkmcnt(7)
	v_add_f32_e32 v60, v60, v82
	ds_bpermute_b32 v62, v4, v75
	ds_bpermute_b32 v82, v4, v10
	s_waitcnt lgkmcnt(8)
	v_add_f32_e32 v81, v7, v81
	v_cndmask_b32_e64 v7, -v78, v78, s13
	s_waitcnt lgkmcnt(7)
	v_add_f32_e32 v61, v6, v61
	ds_bpermute_b32 v6, v4, v14
	v_cndmask_b32_e64 v11, -v11, v11, s13
	v_cndmask_b32_e64 v9, -v9, v9, s13
	s_waitcnt lgkmcnt(7)
	v_add_f32_e32 v78, v7, v83
	ds_bpermute_b32 v7, v4, v22
	v_cndmask_b32_e64 v72, -v72, v72, s13
	s_waitcnt lgkmcnt(7)
	v_add_f32_e32 v83, v11, v84
	ds_bpermute_b32 v11, v4, v12
	ds_bpermute_b32 v84, v4, v63
	s_waitcnt lgkmcnt(8)
	v_add_f32_e32 v87, v9, v8
	v_cndmask_b32_e64 v8, -v76, v76, s13
	s_waitcnt lgkmcnt(7)
	v_add_f32_e32 v72, v72, v86
	v_cndmask_b32_e64 v75, -v75, v75, s13
	v_cndmask_b32_e64 v10, -v10, v10, s13
	ds_bpermute_b32 v86, v4, v17
	v_cndmask_b32_e64 v9, -v14, v14, s13
	ds_bpermute_b32 v14, v4, v15
	s_waitcnt lgkmcnt(8)
	v_add_f32_e32 v73, v8, v73
	ds_bpermute_b32 v8, v4, v20
	s_waitcnt lgkmcnt(8)
	v_add_f32_e32 v62, v75, v62
	s_waitcnt lgkmcnt(7)
	v_add_f32_e32 v75, v10, v82
	v_cndmask_b32_e64 v10, -v22, v22, s13
	s_waitcnt lgkmcnt(6)
	v_add_f32_e32 v76, v9, v6
	ds_bpermute_b32 v6, v4, v74
	v_cndmask_b32_e64 v12, -v12, v12, s13
	ds_bpermute_b32 v22, v4, v19
	v_cndmask_b32_e64 v9, -v63, v63, s13
	s_waitcnt lgkmcnt(7)
	v_add_f32_e32 v63, v10, v7
	ds_bpermute_b32 v7, v4, v18
	v_cndmask_b32_e64 v17, -v17, v17, s13
	s_waitcnt lgkmcnt(7)
	v_add_f32_e32 v82, v12, v11
	s_waitcnt lgkmcnt(6)
	v_add_f32_e32 v84, v9, v84
	ds_bpermute_b32 v9, v4, v21
	v_cndmask_b32_e64 v10, -v15, v15, s13
	v_cndmask_b32_e64 v11, -v20, v20, s13
	ds_bpermute_b32 v12, v4, v25
	s_waitcnt lgkmcnt(7)
	v_add_f32_e32 v86, v17, v86
	ds_bpermute_b32 v15, v4, v23
	v_cndmask_b32_e64 v17, -v19, v19, s13
	v_cndmask_b32_e64 v19, -v74, v74, s13
	s_waitcnt lgkmcnt(7)
	v_add_f32_e32 v14, v10, v14
	ds_bpermute_b32 v10, v4, v24
	s_waitcnt lgkmcnt(7)
	v_add_f32_e32 v74, v11, v8
	ds_bpermute_b32 v8, v4, v26
	v_cndmask_b32_e64 v11, -v18, v18, s13
	s_waitcnt lgkmcnt(7)
	v_add_f32_e32 v89, v19, v6
	ds_bpermute_b32 v6, v4, v27
	ds_bpermute_b32 v18, v4, v30
	s_waitcnt lgkmcnt(8)
	v_add_f32_e32 v88, v17, v22
	v_cndmask_b32_e64 v17, -v21, v21, s13
	s_waitcnt lgkmcnt(7)
	v_add_f32_e32 v90, v11, v7
	v_cndmask_b32_e64 v7, -v25, v25, s13
	v_cndmask_b32_e64 v11, -v23, v23, s13
	v_cndmask_b32_e64 v19, -v30, v30, s13
	s_waitcnt lgkmcnt(6)
	v_add_f32_e32 v91, v17, v9
	v_cndmask_b32_e64 v9, -v24, v24, s13
	v_cndmask_b32_e64 v17, -v26, v26, s13
	s_waitcnt lgkmcnt(5)
	v_add_f32_e32 v92, v7, v12
	ds_bpermute_b32 v7, v4, v34
	s_waitcnt lgkmcnt(5)
	v_add_f32_e32 v15, v11, v15
	ds_bpermute_b32 v11, v4, v28
	s_waitcnt lgkmcnt(5)
	v_add_f32_e32 v93, v9, v10
	v_cndmask_b32_e64 v9, -v27, v27, s13
	ds_bpermute_b32 v10, v4, v29
	s_waitcnt lgkmcnt(5)
	v_add_f32_e32 v30, v17, v8
	ds_bpermute_b32 v8, v4, v31
	ds_bpermute_b32 v20, v4, v38
	s_waitcnt lgkmcnt(6)
	v_add_f32_e32 v94, v9, v6
	ds_bpermute_b32 v6, v4, v35
	s_waitcnt lgkmcnt(6)
	v_add_f32_e32 v95, v19, v18
	ds_bpermute_b32 v18, v4, v36
	v_cndmask_b32_e64 v9, -v34, v34, s13
	ds_bpermute_b32 v12, v4, v32
	v_cndmask_b32_e64 v17, -v28, v28, s13
	;; [unrolled: 2-line block ×3, first 2 shown]
	v_cndmask_b32_e64 v19, -v32, v32, s13
	ds_bpermute_b32 v22, v4, v37
	s_waitcnt lgkmcnt(9)
	v_add_f32_e32 v29, v9, v7
	v_cndmask_b32_e64 v7, -v31, v31, s13
	s_waitcnt lgkmcnt(8)
	v_add_f32_e32 v32, v17, v11
	v_cndmask_b32_e64 v9, -v35, v35, s13
	ds_bpermute_b32 v11, v4, v85
	s_waitcnt lgkmcnt(8)
	v_add_f32_e32 v31, v23, v10
	ds_bpermute_b32 v10, v4, v39
	s_waitcnt lgkmcnt(8)
	v_add_f32_e32 v97, v7, v8
	v_cndmask_b32_e64 v7, -v36, v36, s13
	v_xor_b32_e32 v17, 16, v3
	s_waitcnt lgkmcnt(6)
	v_add_f32_e32 v98, v9, v6
	v_cndmask_b32_e64 v6, -v38, v38, s13
	v_cndmask_b32_e64 v8, -v33, v33, s13
	s_waitcnt lgkmcnt(5)
	v_add_f32_e32 v99, v7, v18
	ds_bpermute_b32 v7, v4, v40
	v_cmp_gt_i32_e64 s14, 32, v17
	v_add_f32_e32 v100, v6, v20
	ds_bpermute_b32 v6, v4, v42
	s_waitcnt lgkmcnt(6)
	v_add_f32_e32 v96, v19, v12
	v_cndmask_b32_e64 v9, -v37, v37, s13
	s_waitcnt lgkmcnt(5)
	v_add_f32_e32 v101, v8, v21
	v_cndmask_b32_e64 v8, -v85, v85, s13
	v_cndmask_b32_e64 v12, -v39, v39, s13
	v_cndmask_b32_e64 v3, v3, v17, s14
	s_waitcnt lgkmcnt(4)
	v_add_f32_e32 v102, v9, v22
	ds_bpermute_b32 v9, v4, v43
	ds_bpermute_b32 v18, v4, v46
	s_waitcnt lgkmcnt(5)
	v_add_f32_e32 v85, v8, v11
	ds_bpermute_b32 v8, v4, v48
	s_waitcnt lgkmcnt(5)
	v_add_f32_e32 v103, v12, v10
	v_cndmask_b32_e64 v10, -v40, v40, s13
	v_lshlrev_b32_e32 v104, 2, v3
	v_cndmask_b32_e64 v11, -v42, v42, s13
	ds_bpermute_b32 v19, v4, v47
	v_cndmask_b32_e64 v12, -v43, v43, s13
	s_waitcnt lgkmcnt(5)
	v_add_f32_e32 v3, v10, v7
	ds_bpermute_b32 v7, v4, v44
	ds_bpermute_b32 v20, v104, v13
	s_waitcnt lgkmcnt(6)
	v_add_f32_e32 v105, v11, v6
	v_and_b32_e32 v11, 16, v0
	v_cndmask_b32_e64 v17, -v46, v46, s13
	ds_bpermute_b32 v10, v4, v41
	v_cndmask_b32_e64 v6, -v48, v48, s13
	ds_bpermute_b32 v22, v104, v58
	v_cmp_eq_u32_e64 s14, 0, v11
	s_waitcnt lgkmcnt(7)
	v_add_f32_e32 v106, v12, v9
	s_waitcnt lgkmcnt(6)
	v_add_f32_e32 v107, v17, v18
	ds_bpermute_b32 v9, v104, v45
	s_waitcnt lgkmcnt(6)
	v_add_f32_e32 v108, v6, v8
	v_cndmask_b32_e64 v6, -v44, v44, s13
	ds_bpermute_b32 v12, v104, v54
	ds_bpermute_b32 v17, v104, v52
	v_cndmask_b32_e64 v18, -v47, v47, s13
	v_cndmask_b32_e64 v13, -v13, v13, s14
	ds_bpermute_b32 v11, v104, v50
	v_cndmask_b32_e64 v8, -v41, v41, s13
	s_waitcnt lgkmcnt(7)
	v_add_f32_e32 v109, v6, v7
	v_add_f32_e32 v111, v18, v19
	s_waitcnt lgkmcnt(6)
	v_add_f32_e32 v6, v13, v20
	ds_bpermute_b32 v13, v104, v49
	ds_bpermute_b32 v18, v104, v55
	;; [unrolled: 1-line block ×4, first 2 shown]
	v_cndmask_b32_e64 v21, -v45, v45, s14
	s_waitcnt lgkmcnt(9)
	v_add_f32_e32 v110, v8, v10
	v_cndmask_b32_e64 v10, -v54, v54, s14
	v_cndmask_b32_e64 v23, -v52, v52, s14
	;; [unrolled: 1-line block ×3, first 2 shown]
	s_waitcnt lgkmcnt(7)
	v_add_f32_e32 v7, v21, v9
	v_cndmask_b32_e64 v21, -v49, v49, s14
	s_waitcnt lgkmcnt(6)
	v_add_f32_e32 v9, v10, v12
	s_waitcnt lgkmcnt(5)
	v_add_f32_e32 v10, v23, v17
	v_cndmask_b32_e64 v12, -v55, v55, s14
	ds_bpermute_b32 v23, v104, v77
	ds_bpermute_b32 v24, v104, v57
	v_cndmask_b32_e64 v17, -v51, v51, s14
	v_cndmask_b32_e64 v27, -v56, v56, s14
	;; [unrolled: 1-line block ×3, first 2 shown]
	s_waitcnt lgkmcnt(6)
	v_add_f32_e32 v8, v8, v11
	s_waitcnt lgkmcnt(5)
	v_add_f32_e32 v11, v21, v13
	;; [unrolled: 2-line block ×5, first 2 shown]
	v_add_f32_e32 v18, v28, v22
	ds_bpermute_b32 v27, v104, v80
	ds_bpermute_b32 v28, v104, v60
	;; [unrolled: 1-line block ×6, first 2 shown]
	v_cndmask_b32_e64 v19, -v77, v77, s14
	v_cndmask_b32_e64 v20, -v57, v57, s14
	ds_bpermute_b32 v34, v104, v79
	ds_bpermute_b32 v39, v104, v87
	ds_bpermute_b32 v40, v104, v62
	ds_bpermute_b32 v33, v104, v72
	s_waitcnt lgkmcnt(11)
	v_add_f32_e32 v19, v19, v23
	s_waitcnt lgkmcnt(10)
	v_add_f32_e32 v20, v20, v24
	v_cndmask_b32_e64 v23, -v80, v80, s14
	v_cndmask_b32_e64 v24, -v60, v60, s14
	ds_bpermute_b32 v38, v104, v83
	ds_bpermute_b32 v43, v104, v76
	;; [unrolled: 1-line block ×4, first 2 shown]
	v_cndmask_b32_e64 v22, -v53, v53, s14
	ds_bpermute_b32 v37, v104, v78
	s_waitcnt lgkmcnt(14)
	v_add_f32_e32 v23, v23, v27
	s_waitcnt lgkmcnt(13)
	v_add_f32_e32 v24, v24, v28
	v_cndmask_b32_e64 v27, -v81, v81, s14
	v_cndmask_b32_e64 v28, -v61, v61, s14
	ds_bpermute_b32 v42, v104, v73
	ds_bpermute_b32 v47, v104, v86
	v_cndmask_b32_e64 v21, -v59, v59, s14
	s_waitcnt lgkmcnt(14)
	v_add_f32_e32 v22, v22, v26
	v_cndmask_b32_e64 v26, -v79, v79, s14
	ds_bpermute_b32 v41, v104, v75
	s_waitcnt lgkmcnt(14)
	v_add_f32_e32 v27, v27, v35
	s_waitcnt lgkmcnt(13)
	v_add_f32_e32 v28, v28, v36
	v_cndmask_b32_e64 v35, -v87, v87, s14
	v_cndmask_b32_e64 v36, -v62, v62, s14
	ds_bpermute_b32 v46, v104, v84
	ds_bpermute_b32 v51, v104, v89
	;; [unrolled: 1-line block ×3, first 2 shown]
	s_waitcnt lgkmcnt(15)
	v_add_f32_e32 v21, v21, v25
	v_cndmask_b32_e64 v25, -v72, v72, s14
	s_waitcnt lgkmcnt(14)
	v_add_f32_e32 v26, v26, v34
	v_cndmask_b32_e64 v34, -v83, v83, s14
	ds_bpermute_b32 v45, v104, v82
	s_waitcnt lgkmcnt(14)
	v_add_f32_e32 v35, v35, v39
	s_waitcnt lgkmcnt(13)
	v_add_f32_e32 v36, v36, v40
	v_cndmask_b32_e64 v39, -v76, v76, s14
	v_cndmask_b32_e64 v40, -v63, v63, s14
	ds_bpermute_b32 v50, v104, v88
	v_cndmask_b32_e64 v14, -v14, v14, s14
	s_waitcnt lgkmcnt(13)
	v_add_f32_e32 v25, v25, v33
	v_cndmask_b32_e64 v33, -v78, v78, s14
	s_waitcnt lgkmcnt(12)
	v_add_f32_e32 v34, v34, v38
	v_cndmask_b32_e64 v38, -v73, v73, s14
	ds_bpermute_b32 v49, v104, v74
	s_waitcnt lgkmcnt(12)
	v_add_f32_e32 v39, v39, v43
	s_waitcnt lgkmcnt(11)
	v_add_f32_e32 v40, v40, v44
	v_cndmask_b32_e64 v43, -v86, v86, s14
	s_waitcnt lgkmcnt(10)
	v_add_f32_e32 v44, v14, v48
	ds_bpermute_b32 v14, v104, v92
	s_waitcnt lgkmcnt(10)
	v_add_f32_e32 v33, v33, v37
	v_cndmask_b32_e64 v37, -v75, v75, s14
	s_waitcnt lgkmcnt(9)
	v_add_f32_e32 v38, v38, v42
	v_cndmask_b32_e64 v42, -v84, v84, s14
	ds_bpermute_b32 v52, v104, v90
	ds_bpermute_b32 v53, v104, v91
	s_waitcnt lgkmcnt(10)
	v_add_f32_e32 v43, v43, v47
	ds_bpermute_b32 v56, v104, v30
	v_cndmask_b32_e64 v47, -v89, v89, s14
	ds_bpermute_b32 v57, v104, v94
	v_cndmask_b32_e64 v15, -v15, v15, s14
	ds_bpermute_b32 v59, v104, v29
	s_waitcnt lgkmcnt(12)
	v_add_f32_e32 v37, v37, v41
	v_cndmask_b32_e64 v41, -v82, v82, s14
	s_waitcnt lgkmcnt(11)
	v_add_f32_e32 v42, v42, v46
	v_cndmask_b32_e64 v46, -v88, v88, s14
	ds_bpermute_b32 v55, v104, v93
	s_waitcnt lgkmcnt(11)
	v_add_f32_e32 v47, v47, v51
	ds_bpermute_b32 v58, v104, v95
	s_waitcnt lgkmcnt(11)
	v_add_f32_e32 v51, v15, v54
	ds_bpermute_b32 v15, v104, v96
	ds_bpermute_b32 v61, v104, v31
	s_waitcnt lgkmcnt(12)
	v_add_f32_e32 v41, v41, v45
	v_cndmask_b32_e64 v45, -v74, v74, s14
	s_waitcnt lgkmcnt(11)
	v_add_f32_e32 v46, v46, v50
	v_cndmask_b32_e64 v50, -v92, v92, s14
	ds_bpermute_b32 v62, v104, v97
	v_cndmask_b32_e64 v48, -v90, v90, s14
	s_waitcnt lgkmcnt(11)
	v_add_f32_e32 v45, v45, v49
	v_cndmask_b32_e64 v49, -v91, v91, s14
	ds_bpermute_b32 v60, v104, v32
	v_cndmask_b32_e64 v30, -v30, v30, s14
	s_waitcnt lgkmcnt(11)
	v_add_f32_e32 v50, v50, v14
	v_cndmask_b32_e64 v14, -v94, v94, s14
	v_cndmask_b32_e64 v29, -v29, v29, s14
	s_waitcnt lgkmcnt(10)
	v_add_f32_e32 v48, v48, v52
	s_waitcnt lgkmcnt(9)
	v_add_f32_e32 v49, v49, v53
	v_cndmask_b32_e64 v52, -v93, v93, s14
	s_waitcnt lgkmcnt(8)
	v_add_f32_e32 v53, v30, v56
	v_cndmask_b32_e64 v30, -v95, v95, s14
	ds_bpermute_b32 v77, v104, v99
	s_waitcnt lgkmcnt(8)
	v_add_f32_e32 v54, v14, v57
	v_cndmask_b32_e64 v14, -v96, v96, s14
	s_waitcnt lgkmcnt(7)
	v_add_f32_e32 v56, v29, v59
	v_cndmask_b32_e64 v29, -v31, v31, s14
	ds_bpermute_b32 v4, v4, v5
	s_waitcnt lgkmcnt(7)
	v_add_f32_e32 v52, v52, v55
	s_waitcnt lgkmcnt(6)
	v_add_f32_e32 v55, v30, v58
	v_cndmask_b32_e64 v30, -v97, v97, s14
	ds_bpermute_b32 v57, v104, v100
	s_waitcnt lgkmcnt(6)
	v_add_f32_e32 v73, v14, v15
	s_waitcnt lgkmcnt(5)
	v_add_f32_e32 v74, v29, v61
	ds_bpermute_b32 v15, v104, v3
	ds_bpermute_b32 v29, v104, v105
	;; [unrolled: 1-line block ×3, first 2 shown]
	v_cndmask_b32_e64 v32, -v32, v32, s14
	s_waitcnt lgkmcnt(7)
	v_add_f32_e32 v75, v30, v62
	ds_bpermute_b32 v14, v104, v103
	ds_bpermute_b32 v30, v104, v106
	v_cndmask_b32_e64 v5, -v5, v5, s13
	s_waitcnt lgkmcnt(8)
	v_add_f32_e32 v72, v32, v60
	v_cndmask_b32_e64 v32, -v99, v99, s14
	ds_bpermute_b32 v60, v104, v85
	v_cndmask_b32_e64 v3, -v3, v3, s14
	v_cndmask_b32_e64 v31, -v98, v98, s14
	s_waitcnt lgkmcnt(7)
	v_add_f32_e32 v84, v5, v4
	v_add_f32_e32 v77, v32, v77
	v_cndmask_b32_e64 v32, -v100, v100, s14
	v_cndmask_b32_e64 v5, -v105, v105, s14
	;; [unrolled: 1-line block ×3, first 2 shown]
	ds_bpermute_b32 v58, v104, v101
	ds_bpermute_b32 v59, v104, v102
	s_waitcnt lgkmcnt(8)
	v_add_f32_e32 v78, v32, v57
	v_cndmask_b32_e64 v32, -v106, v106, s14
	s_waitcnt lgkmcnt(7)
	v_add_f32_e32 v83, v3, v15
	s_waitcnt lgkmcnt(6)
	v_add_f32_e32 v3, v5, v29
	v_and_b32_e32 v15, 7, v0
	v_lshrrev_b32_e32 v29, 3, v0
	s_waitcnt lgkmcnt(5)
	v_add_f32_e32 v76, v31, v63
	ds_bpermute_b32 v31, v104, v107
	s_waitcnt lgkmcnt(5)
	v_add_f32_e32 v82, v4, v14
	s_waitcnt lgkmcnt(4)
	v_add_f32_e32 v4, v32, v30
	v_lshrrev_b32_e32 v32, 5, v0
	v_lshl_or_b32 v29, v15, 5, v29
	v_cndmask_b32_e64 v63, -v85, v85, s14
	v_cndmask_b32_e64 v61, -v101, v101, s14
	;; [unrolled: 1-line block ×3, first 2 shown]
	v_xor_b32_e32 v0, v32, v0
	v_xor_b32_e32 v15, v29, v15
	s_waitcnt lgkmcnt(3)
	v_add_f32_e32 v81, v63, v60
	s_waitcnt lgkmcnt(0)
	s_barrier
	v_lshl_add_u32 v60, v0, 4, 0
	v_lshl_add_u32 v32, v15, 4, 0
	buffer_gl0_inv
	ds_write_b128 v60, v[6:9]
	ds_write_b128 v60, v[10:13] offset:4096
	ds_write_b128 v60, v[17:20] offset:8192
	;; [unrolled: 1-line block ×7, first 2 shown]
	s_waitcnt lgkmcnt(0)
	s_barrier
	buffer_gl0_inv
	ds_read_b128 v[7:10], v32
	v_add_f32_e32 v79, v61, v58
	v_add_f32_e32 v5, v57, v31
	ds_bpermute_b32 v14, v104, v108
	ds_bpermute_b32 v31, v104, v109
	ds_bpermute_b32 v61, v104, v111
	v_cndmask_b32_e64 v62, -v102, v102, s14
	ds_bpermute_b32 v58, v104, v110
	v_cndmask_b32_e64 v63, -v84, v84, s14
	v_cndmask_b32_e64 v30, -v108, v108, s14
	;; [unrolled: 1-line block ×3, first 2 shown]
	v_add_f32_e32 v80, v62, v59
	ds_bpermute_b32 v62, v104, v84
	ds_read_b128 v[17:20], v32 offset:4096
	ds_read_b128 v[21:24], v32 offset:8192
	;; [unrolled: 1-line block ×7, first 2 shown]
	v_cndmask_b32_e64 v29, -v111, v111, s14
	v_cndmask_b32_e64 v59, -v110, v110, s14
	s_waitcnt lgkmcnt(0)
	s_barrier
	buffer_gl0_inv
	ds_write_b128 v60, v[45:48]
	ds_write_b128 v60, v[49:52] offset:4096
	ds_write_b128 v60, v[53:56] offset:8192
	;; [unrolled: 1-line block ×3, first 2 shown]
	ds_bpermute_b32 v0, v2, v7
	ds_bpermute_b32 v15, v2, v8
	v_cndmask_b32_e64 v7, -v7, v7, s12
	v_add_f32_e32 v6, v30, v14
	v_add_f32_e32 v11, v57, v31
	;; [unrolled: 1-line block ×3, first 2 shown]
	ds_bpermute_b32 v29, v2, v9
	ds_bpermute_b32 v30, v2, v10
	;; [unrolled: 1-line block ×3, first 2 shown]
	v_add_f32_e32 v12, v59, v58
	ds_bpermute_b32 v59, v2, v21
	ds_bpermute_b32 v61, v2, v22
	;; [unrolled: 1-line block ×4, first 2 shown]
	v_add_f32_e32 v14, v63, v62
	ds_bpermute_b32 v62, v2, v23
	ds_write_b128 v60, v[76:79] offset:16384
	ds_write_b128 v60, v[80:83] offset:20480
	;; [unrolled: 1-line block ×4, first 2 shown]
	s_waitcnt lgkmcnt(0)
	s_barrier
	buffer_gl0_inv
	v_add_f32_e32 v0, v7, v0
	v_cndmask_b32_e64 v7, -v8, v8, s12
	v_cndmask_b32_e64 v8, -v9, v9, s12
	v_cndmask_b32_e64 v9, -v10, v10, s12
	v_cndmask_b32_e64 v10, -v17, v17, s12
	v_cndmask_b32_e64 v17, -v18, v18, s12
	ds_bpermute_b32 v18, v2, v19
	v_add_f32_e32 v15, v7, v15
	v_add_f32_e32 v29, v8, v29
	;; [unrolled: 1-line block ×4, first 2 shown]
	v_cndmask_b32_e64 v7, -v19, v19, s12
	v_cndmask_b32_e64 v8, -v20, v20, s12
	;; [unrolled: 1-line block ×5, first 2 shown]
	ds_bpermute_b32 v20, v2, v24
	ds_bpermute_b32 v21, v2, v25
	ds_bpermute_b32 v22, v2, v26
	ds_bpermute_b32 v23, v2, v27
	v_add_f32_e32 v59, v9, v59
	v_add_f32_e32 v61, v10, v61
	v_cndmask_b32_e64 v9, -v26, v26, s12
	v_cndmask_b32_e64 v10, -v27, v27, s12
	ds_bpermute_b32 v26, v2, v34
	ds_bpermute_b32 v27, v2, v35
	v_add_f32_e32 v17, v17, v57
	ds_bpermute_b32 v57, v2, v28
	s_waitcnt lgkmcnt(7)
	v_add_f32_e32 v18, v7, v18
	v_add_f32_e32 v58, v8, v58
	v_cndmask_b32_e64 v7, -v24, v24, s12
	v_cndmask_b32_e64 v8, -v25, v25, s12
	;; [unrolled: 1-line block ×3, first 2 shown]
	ds_bpermute_b32 v25, v2, v33
	ds_bpermute_b32 v28, v2, v36
	v_add_f32_e32 v19, v19, v62
	ds_bpermute_b32 v62, v2, v37
	s_waitcnt lgkmcnt(9)
	v_add_f32_e32 v20, v7, v20
	s_waitcnt lgkmcnt(8)
	v_add_f32_e32 v21, v8, v21
	;; [unrolled: 2-line block ×4, first 2 shown]
	v_cndmask_b32_e64 v7, -v33, v33, s12
	v_cndmask_b32_e64 v8, -v34, v34, s12
	;; [unrolled: 1-line block ×5, first 2 shown]
	ds_bpermute_b32 v34, v2, v38
	ds_bpermute_b32 v35, v2, v39
	;; [unrolled: 1-line block ×4, first 2 shown]
	ds_read_b128 v[3:6], v32
	ds_read_b128 v[11:14], v32 offset:4096
	s_waitcnt lgkmcnt(11)
	v_add_f32_e32 v26, v8, v26
	s_waitcnt lgkmcnt(10)
	v_add_f32_e32 v27, v9, v27
	v_cndmask_b32_e64 v8, -v39, v39, s12
	v_cndmask_b32_e64 v9, -v40, v40, s12
	ds_bpermute_b32 v39, v2, v43
	ds_bpermute_b32 v40, v2, v44
	s_waitcnt lgkmcnt(11)
	v_add_f32_e32 v24, v24, v57
	ds_bpermute_b32 v57, v2, v42
	s_waitcnt lgkmcnt(11)
	v_add_f32_e32 v25, v7, v25
	s_waitcnt lgkmcnt(10)
	v_add_f32_e32 v28, v10, v28
	v_cndmask_b32_e64 v7, -v38, v38, s12
	v_cndmask_b32_e64 v10, -v41, v41, s12
	ds_bpermute_b32 v41, v2, v84
	v_cndmask_b32_e64 v38, -v42, v42, s12
	ds_bpermute_b32 v42, v2, v85
	s_waitcnt lgkmcnt(10)
	v_add_f32_e32 v34, v7, v34
	s_waitcnt lgkmcnt(9)
	v_add_f32_e32 v35, v8, v35
	;; [unrolled: 2-line block ×4, first 2 shown]
	v_cndmask_b32_e64 v7, -v43, v43, s12
	v_cndmask_b32_e64 v8, -v44, v44, s12
	ds_bpermute_b32 v9, v2, v87
	s_waitcnt lgkmcnt(7)
	ds_bpermute_b32 v10, v2, v3
	ds_bpermute_b32 v43, v2, v4
	ds_read_b128 v[45:48], v32 offset:8192
	ds_read_b128 v[49:52], v32 offset:12288
	;; [unrolled: 1-line block ×4, first 2 shown]
	v_add_f32_e32 v33, v33, v62
	ds_bpermute_b32 v62, v2, v86
	s_waitcnt lgkmcnt(12)
	v_add_f32_e32 v39, v7, v39
	s_waitcnt lgkmcnt(11)
	v_add_f32_e32 v40, v8, v40
	ds_bpermute_b32 v7, v2, v11
	ds_bpermute_b32 v8, v2, v12
	s_waitcnt lgkmcnt(12)
	v_add_f32_e32 v38, v38, v57
	ds_bpermute_b32 v44, v2, v5
	ds_bpermute_b32 v57, v2, v6
	v_cndmask_b32_e64 v63, -v84, v84, s12
	v_cndmask_b32_e64 v76, -v85, v85, s12
	;; [unrolled: 1-line block ×5, first 2 shown]
	s_waitcnt lgkmcnt(13)
	v_add_f32_e32 v41, v63, v41
	v_cndmask_b32_e64 v63, -v87, v87, s12
	s_waitcnt lgkmcnt(12)
	v_add_f32_e32 v42, v76, v42
	s_waitcnt lgkmcnt(10)
	v_add_f32_e32 v76, v3, v10
	s_waitcnt lgkmcnt(9)
	v_add_f32_e32 v43, v4, v43
	v_cndmask_b32_e64 v3, -v11, v11, s12
	v_add_f32_e32 v63, v63, v9
	v_cndmask_b32_e64 v4, -v12, v12, s12
	ds_bpermute_b32 v9, v2, v13
	ds_bpermute_b32 v10, v2, v14
	s_waitcnt lgkmcnt(10)
	ds_bpermute_b32 v12, v2, v46
	ds_bpermute_b32 v78, v2, v48
	s_waitcnt lgkmcnt(8)
	v_add_f32_e32 v62, v77, v62
	v_cndmask_b32_e64 v5, -v5, v5, s12
	v_cndmask_b32_e64 v6, -v6, v6, s12
	ds_bpermute_b32 v11, v2, v45
	ds_bpermute_b32 v77, v2, v47
	s_waitcnt lgkmcnt(9)
	v_add_f32_e32 v79, v3, v7
	s_waitcnt lgkmcnt(8)
	v_add_f32_e32 v80, v4, v8
	v_cndmask_b32_e64 v7, -v13, v13, s12
	v_cndmask_b32_e64 v8, -v14, v14, s12
	;; [unrolled: 1-line block ×4, first 2 shown]
	ds_bpermute_b32 v45, v2, v49
	ds_bpermute_b32 v46, v2, v50
	;; [unrolled: 1-line block ×4, first 2 shown]
	s_waitcnt lgkmcnt(11)
	v_add_f32_e32 v44, v5, v44
	s_waitcnt lgkmcnt(10)
	v_add_f32_e32 v57, v6, v57
	ds_bpermute_b32 v83, v2, v53
	ds_read_b128 v[3:6], v32 offset:24576
	v_cndmask_b32_e64 v48, -v48, v48, s12
	v_cndmask_b32_e64 v47, -v47, v47, s12
	s_waitcnt lgkmcnt(11)
	v_add_f32_e32 v84, v7, v9
	s_waitcnt lgkmcnt(10)
	v_add_f32_e32 v85, v8, v10
	;; [unrolled: 2-line block ×4, first 2 shown]
	v_cndmask_b32_e64 v7, -v49, v49, s12
	v_cndmask_b32_e64 v8, -v50, v50, s12
	;; [unrolled: 1-line block ×4, first 2 shown]
	ds_bpermute_b32 v48, v2, v54
	ds_bpermute_b32 v50, v2, v55
	s_waitcnt lgkmcnt(9)
	v_add_f32_e32 v11, v13, v11
	s_waitcnt lgkmcnt(8)
	v_add_f32_e32 v13, v47, v77
	v_cndmask_b32_e64 v47, -v53, v53, s12
	s_waitcnt lgkmcnt(7)
	v_add_f32_e32 v45, v7, v45
	s_waitcnt lgkmcnt(6)
	v_add_f32_e32 v46, v8, v46
	;; [unrolled: 2-line block ×4, first 2 shown]
	ds_read_b128 v[7:10], v32 offset:28672
	ds_bpermute_b32 v52, v2, v56
	ds_bpermute_b32 v53, v2, v72
	;; [unrolled: 1-line block ×5, first 2 shown]
	s_waitcnt lgkmcnt(9)
	v_add_f32_e32 v47, v47, v83
	s_waitcnt lgkmcnt(8)
	ds_bpermute_b32 v82, v2, v3
	ds_bpermute_b32 v83, v2, v5
	v_cndmask_b32_e64 v54, -v54, v54, s12
	v_cndmask_b32_e64 v55, -v55, v55, s12
	;; [unrolled: 1-line block ×7, first 2 shown]
	s_waitcnt lgkmcnt(9)
	v_add_f32_e32 v48, v54, v48
	ds_bpermute_b32 v54, v2, v4
	s_waitcnt lgkmcnt(9)
	v_add_f32_e32 v50, v55, v50
	ds_bpermute_b32 v55, v2, v6
	s_waitcnt lgkmcnt(9)
	ds_bpermute_b32 v86, v2, v7
	s_waitcnt lgkmcnt(9)
	v_add_f32_e32 v52, v56, v52
	s_waitcnt lgkmcnt(8)
	v_add_f32_e32 v53, v72, v53
	v_cndmask_b32_e64 v3, -v3, v3, s12
	s_waitcnt lgkmcnt(7)
	v_add_f32_e32 v56, v73, v77
	s_waitcnt lgkmcnt(6)
	v_add_f32_e32 v72, v74, v78
	;; [unrolled: 2-line block ×3, first 2 shown]
	ds_bpermute_b32 v74, v2, v8
	v_cndmask_b32_e64 v5, -v5, v5, s12
	ds_bpermute_b32 v75, v2, v9
	ds_bpermute_b32 v77, v2, v10
	;; [unrolled: 1-line block ×3, first 2 shown]
	s_waitcnt lgkmcnt(8)
	v_add_f32_e32 v81, v3, v82
	v_cndmask_b32_e64 v2, -v6, v6, s12
	v_cndmask_b32_e64 v3, -v7, v7, s12
	s_waitcnt lgkmcnt(7)
	v_add_f32_e32 v5, v5, v83
	v_cndmask_b32_e64 v6, -v8, v8, s12
	ds_bpermute_b32 v7, v1, v15
	ds_bpermute_b32 v8, v1, v29
	;; [unrolled: 1-line block ×4, first 2 shown]
	v_cndmask_b32_e64 v4, -v4, v4, s12
	v_cndmask_b32_e64 v29, -v29, v29, s10
	;; [unrolled: 1-line block ×4, first 2 shown]
	s_waitcnt lgkmcnt(0)
	v_add_f32_e32 v4, v4, v54
	v_add_f32_e32 v54, v2, v55
	v_cndmask_b32_e64 v2, -v9, v9, s12
	v_cndmask_b32_e64 v9, -v10, v10, s12
	;; [unrolled: 1-line block ×3, first 2 shown]
	v_add_f32_e32 v55, v3, v86
	v_add_f32_e32 v3, v6, v74
	ds_bpermute_b32 v6, v1, v17
	v_add_f32_e32 v2, v2, v75
	v_add_f32_e32 v0, v9, v77
	;; [unrolled: 1-line block ×3, first 2 shown]
	v_cndmask_b32_e64 v10, -v15, v15, s10
	ds_bpermute_b32 v15, v1, v18
	ds_bpermute_b32 v74, v1, v58
	;; [unrolled: 1-line block ×3, first 2 shown]
	v_add_f32_e32 v8, v29, v8
	v_add_f32_e32 v7, v10, v7
	;; [unrolled: 1-line block ×4, first 2 shown]
	ds_bpermute_b32 v30, v1, v61
	ds_bpermute_b32 v31, v1, v19
	;; [unrolled: 1-line block ×4, first 2 shown]
	v_cndmask_b32_e64 v17, -v17, v17, s10
	v_cndmask_b32_e64 v18, -v18, v18, s10
	;; [unrolled: 1-line block ×5, first 2 shown]
	s_waitcnt lgkmcnt(7)
	v_add_f32_e32 v6, v17, v6
	ds_bpermute_b32 v17, v1, v22
	v_cndmask_b32_e64 v20, -v20, v20, s10
	v_cndmask_b32_e64 v21, -v21, v21, s10
	s_waitcnt lgkmcnt(7)
	v_add_f32_e32 v15, v18, v15
	s_waitcnt lgkmcnt(6)
	v_add_f32_e32 v18, v58, v74
	;; [unrolled: 2-line block ×3, first 2 shown]
	v_cndmask_b32_e64 v59, -v61, v61, s10
	ds_bpermute_b32 v61, v1, v23
	ds_bpermute_b32 v74, v1, v24
	;; [unrolled: 1-line block ×3, first 2 shown]
	v_cndmask_b32_e64 v22, -v22, v22, s10
	s_waitcnt lgkmcnt(7)
	v_add_f32_e32 v30, v59, v30
	s_waitcnt lgkmcnt(6)
	v_add_f32_e32 v19, v19, v31
	;; [unrolled: 2-line block ×4, first 2 shown]
	ds_bpermute_b32 v31, v1, v26
	ds_bpermute_b32 v59, v1, v27
	ds_bpermute_b32 v77, v1, v28
	ds_bpermute_b32 v78, v1, v33
	v_cndmask_b32_e64 v23, -v23, v23, s10
	v_cndmask_b32_e64 v24, -v24, v24, s10
	;; [unrolled: 1-line block ×3, first 2 shown]
	s_waitcnt lgkmcnt(7)
	v_add_f32_e32 v17, v22, v17
	ds_bpermute_b32 v22, v1, v34
	v_cndmask_b32_e64 v26, -v26, v26, s10
	v_cndmask_b32_e64 v27, -v27, v27, s10
	;; [unrolled: 1-line block ×3, first 2 shown]
	s_waitcnt lgkmcnt(7)
	v_add_f32_e32 v23, v23, v61
	s_waitcnt lgkmcnt(6)
	v_add_f32_e32 v24, v24, v74
	;; [unrolled: 2-line block ×3, first 2 shown]
	ds_bpermute_b32 v61, v1, v35
	ds_bpermute_b32 v74, v1, v36
	;; [unrolled: 1-line block ×3, first 2 shown]
	v_cndmask_b32_e64 v33, -v33, v33, s10
	v_cndmask_b32_e64 v34, -v34, v34, s10
	s_waitcnt lgkmcnt(7)
	v_add_f32_e32 v26, v26, v31
	s_waitcnt lgkmcnt(6)
	v_add_f32_e32 v27, v27, v59
	;; [unrolled: 2-line block ×4, first 2 shown]
	ds_bpermute_b32 v33, v1, v38
	ds_bpermute_b32 v59, v1, v39
	;; [unrolled: 1-line block ×4, first 2 shown]
	v_cndmask_b32_e64 v35, -v35, v35, s10
	v_cndmask_b32_e64 v36, -v36, v36, s10
	;; [unrolled: 1-line block ×3, first 2 shown]
	s_waitcnt lgkmcnt(7)
	v_add_f32_e32 v34, v34, v22
	ds_bpermute_b32 v22, v1, v42
	v_cndmask_b32_e64 v38, -v38, v38, s10
	v_cndmask_b32_e64 v39, -v39, v39, s10
	s_waitcnt lgkmcnt(7)
	v_add_f32_e32 v35, v35, v61
	s_waitcnt lgkmcnt(6)
	v_add_f32_e32 v36, v36, v74
	;; [unrolled: 2-line block ×3, first 2 shown]
	ds_bpermute_b32 v61, v1, v62
	ds_bpermute_b32 v74, v1, v63
	;; [unrolled: 1-line block ×3, first 2 shown]
	v_cndmask_b32_e64 v40, -v40, v40, s10
	v_cndmask_b32_e64 v41, -v41, v41, s10
	;; [unrolled: 1-line block ×3, first 2 shown]
	s_waitcnt lgkmcnt(7)
	v_add_f32_e32 v33, v38, v33
	s_waitcnt lgkmcnt(6)
	v_add_f32_e32 v38, v39, v59
	;; [unrolled: 2-line block ×4, first 2 shown]
	ds_bpermute_b32 v41, v1, v43
	ds_bpermute_b32 v59, v1, v44
	;; [unrolled: 1-line block ×4, first 2 shown]
	v_cndmask_b32_e64 v62, -v62, v62, s10
	v_cndmask_b32_e64 v63, -v63, v63, s10
	;; [unrolled: 1-line block ×3, first 2 shown]
	s_waitcnt lgkmcnt(7)
	v_add_f32_e32 v42, v42, v22
	ds_bpermute_b32 v22, v1, v80
	v_cndmask_b32_e64 v43, -v43, v43, s10
	s_waitcnt lgkmcnt(7)
	v_add_f32_e32 v61, v62, v61
	s_waitcnt lgkmcnt(6)
	v_add_f32_e32 v62, v63, v74
	;; [unrolled: 2-line block ×3, first 2 shown]
	ds_bpermute_b32 v75, v1, v85
	ds_bpermute_b32 v76, v1, v11
	v_cndmask_b32_e64 v44, -v44, v44, s10
	v_cndmask_b32_e64 v57, -v57, v57, s10
	;; [unrolled: 1-line block ×3, first 2 shown]
	ds_bpermute_b32 v74, v1, v84
	v_cndmask_b32_e64 v80, -v80, v80, s10
	s_waitcnt lgkmcnt(7)
	v_add_f32_e32 v41, v43, v41
	s_waitcnt lgkmcnt(6)
	v_add_f32_e32 v43, v44, v59
	;; [unrolled: 2-line block ×4, first 2 shown]
	ds_bpermute_b32 v59, v1, v12
	ds_bpermute_b32 v77, v1, v13
	;; [unrolled: 1-line block ×4, first 2 shown]
	v_cndmask_b32_e64 v83, -v85, v85, s10
	v_cndmask_b32_e64 v11, -v11, v11, s10
	s_waitcnt lgkmcnt(7)
	v_add_f32_e32 v80, v80, v22
	ds_bpermute_b32 v22, v1, v46
	v_cndmask_b32_e64 v13, -v13, v13, s10
	s_waitcnt lgkmcnt(7)
	v_add_f32_e32 v75, v83, v75
	s_waitcnt lgkmcnt(6)
	v_add_f32_e32 v76, v11, v76
	v_cndmask_b32_e64 v11, -v12, v12, s10
	ds_bpermute_b32 v12, v1, v49
	ds_bpermute_b32 v83, v1, v47
	v_cndmask_b32_e64 v14, -v14, v14, s10
	v_cndmask_b32_e64 v82, -v84, v84, s10
	;; [unrolled: 1-line block ×6, first 2 shown]
	s_waitcnt lgkmcnt(6)
	v_add_f32_e32 v59, v11, v59
	s_waitcnt lgkmcnt(5)
	v_add_f32_e32 v77, v13, v77
	;; [unrolled: 2-line block ×3, first 2 shown]
	ds_bpermute_b32 v11, v1, v48
	ds_bpermute_b32 v13, v1, v50
	;; [unrolled: 1-line block ×3, first 2 shown]
	v_add_f32_e32 v74, v82, v74
	ds_bpermute_b32 v82, v1, v51
	s_waitcnt lgkmcnt(7)
	v_add_f32_e32 v79, v45, v79
	ds_bpermute_b32 v45, v1, v53
	s_waitcnt lgkmcnt(7)
	;; [unrolled: 3-line block ×3, first 2 shown]
	v_add_f32_e32 v85, v49, v12
	s_waitcnt lgkmcnt(6)
	v_add_f32_e32 v83, v47, v83
	v_cndmask_b32_e64 v12, -v48, v48, s10
	ds_bpermute_b32 v46, v1, v72
	ds_bpermute_b32 v47, v1, v73
	v_cndmask_b32_e64 v49, -v50, v50, s10
	v_cndmask_b32_e64 v50, -v52, v52, s10
	;; [unrolled: 1-line block ×4, first 2 shown]
	ds_bpermute_b32 v48, v1, v81
	s_barrier
	s_waitcnt lgkmcnt(8)
	v_add_f32_e32 v56, v12, v11
	s_waitcnt lgkmcnt(7)
	v_add_f32_e32 v86, v49, v13
	;; [unrolled: 2-line block ×3, first 2 shown]
	ds_bpermute_b32 v11, v1, v4
	ds_bpermute_b32 v12, v1, v5
	;; [unrolled: 1-line block ×4, first 2 shown]
	s_waitcnt lgkmcnt(9)
	v_add_f32_e32 v82, v51, v82
	v_cndmask_b32_e64 v51, -v53, v53, s10
	v_cndmask_b32_e64 v49, -v73, v73, s10
	;; [unrolled: 1-line block ×5, first 2 shown]
	s_waitcnt lgkmcnt(8)
	v_add_f32_e32 v88, v51, v45
	v_cndmask_b32_e64 v45, -v72, v72, s10
	s_waitcnt lgkmcnt(7)
	v_add_f32_e32 v72, v52, v22
	ds_bpermute_b32 v22, v16, v8
	s_waitcnt lgkmcnt(6)
	v_add_f32_e32 v81, v49, v47
	ds_bpermute_b32 v47, v16, v6
	v_add_f32_e32 v73, v45, v46
	ds_bpermute_b32 v45, v16, v10
	ds_bpermute_b32 v46, v16, v29
	v_cndmask_b32_e64 v9, -v9, v9, s11
	v_cndmask_b32_e64 v7, -v7, v7, s11
	s_waitcnt lgkmcnt(7)
	v_add_f32_e32 v90, v4, v11
	s_waitcnt lgkmcnt(6)
	v_add_f32_e32 v91, v5, v12
	ds_bpermute_b32 v11, v16, v15
	s_waitcnt lgkmcnt(6)
	v_add_f32_e32 v4, v9, v13
	s_waitcnt lgkmcnt(5)
	v_add_f32_e32 v5, v7, v14
	ds_bpermute_b32 v12, v16, v18
	ds_bpermute_b32 v13, v16, v58
	;; [unrolled: 1-line block ×3, first 2 shown]
	v_cndmask_b32_e64 v8, -v8, v8, s11
	v_cndmask_b32_e64 v7, -v10, v10, s11
	;; [unrolled: 1-line block ×4, first 2 shown]
	ds_bpermute_b32 v29, v1, v54
	s_waitcnt lgkmcnt(8)
	v_add_f32_e32 v6, v8, v22
	v_cndmask_b32_e64 v18, -v18, v18, s11
	v_cndmask_b32_e64 v22, -v58, v58, s11
	s_waitcnt lgkmcnt(6)
	v_add_f32_e32 v7, v7, v45
	s_waitcnt lgkmcnt(5)
	v_add_f32_e32 v8, v9, v46
	v_add_f32_e32 v9, v10, v47
	v_cndmask_b32_e64 v10, -v15, v15, s11
	ds_bpermute_b32 v15, v16, v19
	ds_bpermute_b32 v45, v16, v20
	;; [unrolled: 1-line block ×3, first 2 shown]
	v_cndmask_b32_e64 v30, -v30, v30, s11
	ds_bpermute_b32 v47, v16, v17
	v_add_f32_e32 v89, v50, v48
	s_waitcnt lgkmcnt(8)
	v_add_f32_e32 v10, v10, v11
	s_waitcnt lgkmcnt(7)
	;; [unrolled: 2-line block ×4, first 2 shown]
	v_add_f32_e32 v13, v30, v14
	ds_bpermute_b32 v22, v16, v23
	ds_bpermute_b32 v30, v16, v24
	;; [unrolled: 1-line block ×3, first 2 shown]
	v_cndmask_b32_e64 v18, -v54, v54, s10
	v_cndmask_b32_e64 v14, -v19, v19, s11
	ds_bpermute_b32 v49, v16, v26
	v_cndmask_b32_e64 v19, -v21, v21, s11
	v_cndmask_b32_e64 v21, -v23, v23, s11
	s_waitcnt lgkmcnt(8)
	v_add_f32_e32 v29, v18, v29
	v_cndmask_b32_e64 v18, -v20, v20, s11
	v_cndmask_b32_e64 v20, -v17, v17, s11
	s_waitcnt lgkmcnt(7)
	v_add_f32_e32 v14, v14, v15
	s_waitcnt lgkmcnt(5)
	v_add_f32_e32 v17, v19, v46
	ds_bpermute_b32 v23, v16, v27
	v_add_f32_e32 v15, v18, v45
	s_waitcnt lgkmcnt(5)
	v_add_f32_e32 v18, v20, v47
	ds_bpermute_b32 v45, v16, v28
	ds_bpermute_b32 v46, v16, v31
	;; [unrolled: 1-line block ×3, first 2 shown]
	v_cndmask_b32_e64 v20, -v24, v24, s11
	v_cndmask_b32_e64 v24, -v25, v25, s11
	ds_bpermute_b32 v50, v1, v55
	s_waitcnt lgkmcnt(8)
	v_add_f32_e32 v19, v21, v22
	v_cndmask_b32_e64 v25, -v26, v26, s11
	s_waitcnt lgkmcnt(7)
	v_add_f32_e32 v20, v20, v30
	s_waitcnt lgkmcnt(6)
	v_add_f32_e32 v21, v24, v48
	v_cndmask_b32_e64 v24, -v27, v27, s11
	ds_bpermute_b32 v27, v16, v35
	ds_bpermute_b32 v30, v16, v37
	s_waitcnt lgkmcnt(7)
	v_add_f32_e32 v22, v25, v49
	v_cndmask_b32_e64 v25, -v28, v28, s11
	v_cndmask_b32_e64 v26, -v31, v31, s11
	ds_bpermute_b32 v28, v16, v36
	v_cndmask_b32_e64 v31, -v34, v34, s11
	s_waitcnt lgkmcnt(7)
	v_add_f32_e32 v23, v24, v23
	ds_bpermute_b32 v34, v16, v33
	s_waitcnt lgkmcnt(7)
	v_add_f32_e32 v24, v25, v45
	v_cndmask_b32_e64 v45, -v55, v55, s10
	s_waitcnt lgkmcnt(6)
	v_add_f32_e32 v25, v26, v46
	s_waitcnt lgkmcnt(5)
	v_add_f32_e32 v26, v31, v47
	ds_bpermute_b32 v31, v16, v38
	v_cndmask_b32_e64 v35, -v35, v35, s11
	ds_bpermute_b32 v47, v16, v42
	v_cndmask_b32_e64 v37, -v37, v37, s11
	s_waitcnt lgkmcnt(6)
	v_add_f32_e32 v58, v45, v50
	ds_bpermute_b32 v45, v16, v39
	v_cndmask_b32_e64 v36, -v36, v36, s11
	s_waitcnt lgkmcnt(6)
	v_add_f32_e32 v27, v35, v27
	v_cndmask_b32_e64 v35, -v33, v33, s11
	s_waitcnt lgkmcnt(5)
	v_add_f32_e32 v33, v37, v30
	ds_bpermute_b32 v30, v16, v61
	ds_bpermute_b32 v48, v16, v62
	;; [unrolled: 1-line block ×4, first 2 shown]
	v_cndmask_b32_e64 v38, -v38, v38, s11
	s_waitcnt lgkmcnt(8)
	v_add_f32_e32 v28, v36, v28
	v_cndmask_b32_e64 v36, -v39, v39, s11
	v_cndmask_b32_e64 v39, -v42, v42, s11
	s_waitcnt lgkmcnt(7)
	v_add_f32_e32 v34, v35, v34
	ds_bpermute_b32 v49, v16, v63
	ds_bpermute_b32 v50, v16, v41
	s_waitcnt lgkmcnt(8)
	v_add_f32_e32 v35, v38, v31
	s_waitcnt lgkmcnt(7)
	v_add_f32_e32 v38, v39, v47
	ds_bpermute_b32 v31, v16, v43
	v_cndmask_b32_e64 v39, -v61, v61, s11
	v_cndmask_b32_e64 v37, -v40, v40, s11
	s_waitcnt lgkmcnt(7)
	v_add_f32_e32 v36, v36, v45
	v_cndmask_b32_e64 v40, -v62, v62, s11
	ds_bpermute_b32 v45, v16, v44
	ds_bpermute_b32 v47, v16, v57
	s_waitcnt lgkmcnt(8)
	v_add_f32_e32 v39, v39, v30
	ds_bpermute_b32 v30, v16, v80
	v_cndmask_b32_e64 v3, -v3, v3, s10
	s_waitcnt lgkmcnt(8)
	v_add_f32_e32 v40, v40, v48
	ds_bpermute_b32 v48, v16, v74
	s_waitcnt lgkmcnt(7)
	v_add_f32_e32 v37, v37, v46
	v_cndmask_b32_e64 v42, -v63, v63, s11
	v_add_f32_e32 v61, v3, v51
	ds_bpermute_b32 v3, v16, v75
	v_cndmask_b32_e64 v46, -v41, v41, s11
	v_cndmask_b32_e64 v43, -v43, v43, s11
	s_waitcnt lgkmcnt(7)
	v_add_f32_e32 v41, v42, v49
	v_cndmask_b32_e64 v44, -v44, v44, s11
	ds_bpermute_b32 v49, v16, v76
	s_waitcnt lgkmcnt(7)
	v_add_f32_e32 v42, v46, v50
	ds_bpermute_b32 v50, v16, v59
	s_waitcnt lgkmcnt(7)
	v_add_f32_e32 v43, v43, v31
	v_cndmask_b32_e64 v31, -v57, v57, s11
	v_cndmask_b32_e64 v46, -v80, v80, s11
	ds_bpermute_b32 v52, v16, v77
	v_cndmask_b32_e64 v51, -v74, v74, s11
	s_waitcnt lgkmcnt(7)
	v_add_f32_e32 v44, v44, v45
	s_waitcnt lgkmcnt(6)
	v_add_f32_e32 v45, v31, v47
	ds_bpermute_b32 v31, v16, v78
	s_waitcnt lgkmcnt(6)
	v_add_f32_e32 v46, v46, v30
	v_cndmask_b32_e64 v30, -v75, v75, s11
	ds_bpermute_b32 v53, v16, v79
	s_waitcnt lgkmcnt(6)
	v_add_f32_e32 v47, v51, v48
	v_cndmask_b32_e64 v51, -v76, v76, s11
	v_cndmask_b32_e64 v55, -v59, v59, s11
	s_waitcnt lgkmcnt(5)
	v_add_f32_e32 v48, v30, v3
	ds_bpermute_b32 v3, v16, v85
	ds_bpermute_b32 v57, v1, v2
	v_cndmask_b32_e64 v30, -v77, v77, s11
	ds_bpermute_b32 v1, v1, v0
	ds_bpermute_b32 v54, v16, v84
	s_waitcnt lgkmcnt(8)
	v_add_f32_e32 v49, v51, v49
	s_waitcnt lgkmcnt(7)
	v_add_f32_e32 v50, v55, v50
	v_cndmask_b32_e64 v55, -v78, v78, s11
	s_waitcnt lgkmcnt(6)
	v_add_f32_e32 v51, v30, v52
	ds_bpermute_b32 v30, v16, v82
	v_cndmask_b32_e64 v59, -v79, v79, s11
	v_cndmask_b32_e64 v2, -v2, v2, s10
	s_waitcnt lgkmcnt(6)
	v_add_f32_e32 v52, v55, v31
	ds_bpermute_b32 v31, v16, v83
	v_cndmask_b32_e64 v55, -v85, v85, s11
	s_waitcnt lgkmcnt(6)
	v_add_f32_e32 v53, v59, v53
	ds_bpermute_b32 v59, v16, v56
	v_cndmask_b32_e64 v0, -v0, v0, s10
	v_cndmask_b32_e64 v62, -v84, v84, s11
	ds_bpermute_b32 v63, v16, v88
	s_waitcnt lgkmcnt(7)
	v_add_f32_e32 v55, v55, v3
	ds_bpermute_b32 v3, v16, v87
	s_waitcnt lgkmcnt(7)
	v_add_f32_e32 v57, v2, v57
	v_cndmask_b32_e64 v2, -v82, v82, s11
	s_waitcnt lgkmcnt(6)
	v_add_f32_e32 v79, v0, v1
	ds_bpermute_b32 v1, v16, v81
	s_waitcnt lgkmcnt(6)
	v_add_f32_e32 v54, v62, v54
	ds_bpermute_b32 v62, v16, v86
	v_cndmask_b32_e64 v74, -v83, v83, s11
	v_cndmask_b32_e64 v75, -v56, v56, s11
	s_waitcnt lgkmcnt(6)
	v_add_f32_e32 v56, v2, v30
	ds_bpermute_b32 v2, v16, v89
	ds_bpermute_b32 v30, v16, v90
	s_waitcnt lgkmcnt(7)
	v_add_f32_e32 v74, v74, v31
	v_cndmask_b32_e64 v31, -v87, v87, s11
	v_cndmask_b32_e64 v76, -v86, v86, s11
	s_waitcnt lgkmcnt(6)
	v_add_f32_e32 v75, v75, v59
	v_cndmask_b32_e64 v59, -v88, v88, s11
	s_waitcnt lgkmcnt(0)
	buffer_gl0_inv
	ds_write_b128 v32, v[4:7]
	ds_write_b128 v32, v[8:11] offset:4096
	ds_write_b128 v32, v[12:15] offset:8192
	;; [unrolled: 1-line block ×7, first 2 shown]
	ds_bpermute_b32 v35, v16, v57
	v_add_f32_e32 v77, v31, v3
	v_cndmask_b32_e64 v31, -v81, v81, s11
	v_add_f32_e32 v85, v59, v63
	v_cndmask_b32_e64 v59, -v89, v89, s11
	ds_bpermute_b32 v36, v16, v79
	ds_bpermute_b32 v78, v16, v72
	v_add_f32_e32 v88, v31, v1
	ds_bpermute_b32 v31, v16, v58
	v_add_f32_e32 v76, v76, v62
	v_cndmask_b32_e64 v62, -v90, v90, s11
	v_add_f32_e32 v89, v59, v2
	ds_bpermute_b32 v59, v16, v61
	ds_bpermute_b32 v0, v16, v73
	;; [unrolled: 1-line block ×3, first 2 shown]
	v_add_f32_e32 v90, v62, v30
	ds_bpermute_b32 v30, v16, v29
	v_cndmask_b32_e64 v17, -v58, v58, s11
	v_cndmask_b32_e64 v37, -v57, v57, s11
	;; [unrolled: 1-line block ×7, first 2 shown]
	s_waitcnt lgkmcnt(7)
	v_add_f32_e32 v35, v37, v35
	s_waitcnt lgkmcnt(6)
	v_add_f32_e32 v36, v38, v36
	;; [unrolled: 2-line block ×4, first 2 shown]
	v_cndmask_b32_e64 v17, -v61, v61, s11
	s_barrier
	buffer_gl0_inv
	s_load_dword s10, s[4:5], 0x20
	v_add_f32_e32 v87, v3, v0
	v_add_f32_e32 v34, v17, v59
	;; [unrolled: 1-line block ×3, first 2 shown]
	ds_read_b128 v[0:3], v60
	ds_read_b128 v[4:7], v60 offset:8192
	ds_read_b128 v[8:11], v60 offset:16384
	;; [unrolled: 1-line block ×3, first 2 shown]
	v_add_f32_e32 v92, v29, v30
	ds_read_b128 v[16:19], v60 offset:4096
	ds_read_b128 v[20:23], v60 offset:12288
	;; [unrolled: 1-line block ×4, first 2 shown]
	s_waitcnt lgkmcnt(0)
	s_barrier
	buffer_gl0_inv
	ds_write_b128 v32, v[41:44]
	ds_write_b128 v32, v[45:48] offset:4096
	ds_write_b128 v32, v[49:52] offset:8192
	;; [unrolled: 1-line block ×7, first 2 shown]
	s_waitcnt lgkmcnt(0)
	s_barrier
	buffer_gl0_inv
	ds_read_b128 v[40:43], v60
	ds_read_b128 v[32:35], v60 offset:4096
	ds_read_b128 v[44:47], v60 offset:8192
	ds_read_b128 v[36:39], v60 offset:12288
	ds_read_b128 v[52:55], v60 offset:24576
	ds_read_b128 v[56:59], v60 offset:16384
	ds_read_b128 v[48:51], v60 offset:20480
	ds_read_b128 v[60:63], v60 offset:28672
	s_mul_i32 s4, s22, s15
	s_mul_hi_u32 s5, s22, s6
	s_add_i32 s4, s5, s4
	s_mul_i32 s5, s23, s6
	v_add_f32_e32 v80, v0, v4
	v_add_f32_e32 v81, v1, v5
	;; [unrolled: 1-line block ×16, first 2 shown]
	s_waitcnt lgkmcnt(5)
	v_add_f32_e32 v104, v40, v44
	v_add_f32_e32 v105, v41, v45
	v_add_f32_e32 v106, v42, v46
	v_add_f32_e32 v107, v43, v47
	s_waitcnt lgkmcnt(4)
	v_add_f32_e32 v108, v32, v36
	v_add_f32_e32 v109, v33, v37
	v_add_f32_e32 v110, v34, v38
	v_add_f32_e32 v111, v35, v39
	;; [unrolled: 5-line block ×4, first 2 shown]
	s_add_i32 s5, s4, s5
	s_mul_i32 s4, s22, s6
	v_add_f32_e32 v72, v80, v82
	s_lshl_b64 s[4:5], s[4:5], 1
	v_add_f32_e32 v73, v81, v83
	v_add_f32_e32 v74, v84, v94
	v_add_f32_e32 v75, v93, v95
	v_add_f32_e32 v77, v96, v98
	v_add_f32_e32 v76, v97, v99
	v_add_f32_e32 v79, v100, v102
	v_add_f32_e32 v78, v101, v103
	v_add_f32_e32 v89, v104, v112
	v_add_f32_e32 v90, v105, v113
	v_add_f32_e32 v91, v106, v114
	v_add_f32_e32 v85, v107, v115
	v_add_f32_e32 v87, v108, v116
	v_add_f32_e32 v86, v109, v117
	v_add_f32_e32 v92, v110, v118
	v_add_f32_e32 v88, v111, v119
	s_add_u32 s4, s18, s4
	s_addc_u32 s5, s19, s5
	s_and_saveexec_b32 s6, s8
	s_cbranch_execz .LBB24_18
; %bb.17:
	v_add_f32_e32 v120, v92, v79
	v_add_f32_e32 v121, v87, v77
	;; [unrolled: 1-line block ×8, first 2 shown]
	v_fma_mixlo_f16 v123, s10, v120, 0
	v_fma_mixlo_f16 v122, s10, v121, 0
	;; [unrolled: 1-line block ×4, first 2 shown]
	v_fma_mixhi_f16 v123, s10, v124, 0
	v_fma_mixhi_f16 v122, s10, v125, 0
	;; [unrolled: 1-line block ×4, first 2 shown]
	global_store_dwordx4 v71, v[120:123], s[4:5]
.LBB24_18:
	s_or_b32 exec_lo, exec_lo, s6
	v_sub_f32_e32 v71, v1, v5
	v_sub_f32_e32 v120, v0, v4
	;; [unrolled: 1-line block ×32, first 2 shown]
	v_add_f32_e32 v0, v120, v121
	v_add_f32_e32 v1, v71, v122
	;; [unrolled: 1-line block ×16, first 2 shown]
	s_and_saveexec_b32 s6, s2
	s_cbranch_execz .LBB24_20
; %bb.19:
	v_add_f32_e32 v16, v12, v0
	v_add_f32_e32 v17, v14, v2
	;; [unrolled: 1-line block ×8, first 2 shown]
	v_fma_mixlo_f16 v19, s10, v18, 0
	v_fma_mixlo_f16 v18, s10, v21, 0
	;; [unrolled: 1-line block ×4, first 2 shown]
	v_fma_mixhi_f16 v19, s10, v24, 0
	v_fma_mixhi_f16 v18, s10, v23, 0
	;; [unrolled: 1-line block ×4, first 2 shown]
	global_store_dwordx4 v67, v[16:19], s[4:5]
.LBB24_20:
	s_or_b32 exec_lo, exec_lo, s6
	v_sub_f32_e32 v20, v80, v82
	v_sub_f32_e32 v21, v81, v83
	;; [unrolled: 1-line block ×16, first 2 shown]
	s_and_saveexec_b32 s2, s0
	s_cbranch_execz .LBB24_22
; %bb.21:
	v_add_f32_e32 v32, v20, v28
	v_add_f32_e32 v33, v22, v30
	;; [unrolled: 1-line block ×8, first 2 shown]
	v_fma_mixlo_f16 v35, s10, v34, 0
	v_fma_mixlo_f16 v34, s10, v37, 0
	;; [unrolled: 1-line block ×4, first 2 shown]
	v_fma_mixhi_f16 v35, s10, v53, 0
	v_fma_mixhi_f16 v34, s10, v39, 0
	;; [unrolled: 1-line block ×4, first 2 shown]
	global_store_dwordx4 v65, v[32:35], s[4:5]
.LBB24_22:
	s_or_b32 exec_lo, exec_lo, s2
	v_sub_f32_e32 v36, v71, v122
	v_sub_f32_e32 v37, v120, v121
	v_sub_f32_e32 v38, v125, v126
	v_sub_f32_e32 v32, v123, v124
	v_sub_f32_e32 v33, v127, v129
	v_sub_f32_e32 v35, v128, v130
	v_sub_f32_e32 v34, v131, v134
	v_sub_f32_e32 v39, v132, v133
	v_sub_f32_e32 v44, v41, v44
	v_sub_f32_e32 v45, v40, v45
	v_sub_f32_e32 v46, v43, v46
	v_sub_f32_e32 v40, v42, v52
	v_sub_f32_e32 v41, v47, v49
	v_sub_f32_e32 v43, v135, v48
	v_sub_f32_e32 v42, v136, v51
	v_sub_f32_e32 v47, v137, v50
	s_and_saveexec_b32 s0, vcc_lo
	s_cbranch_execnz .LBB24_28
; %bb.23:
	s_or_b32 exec_lo, exec_lo, s0
	s_and_saveexec_b32 s0, s1
	s_cbranch_execnz .LBB24_29
.LBB24_24:
	s_or_b32 exec_lo, exec_lo, s0
	s_and_saveexec_b32 s0, s3
	s_cbranch_execnz .LBB24_30
.LBB24_25:
	s_or_b32 exec_lo, exec_lo, s0
	s_and_saveexec_b32 s0, s9
	s_cbranch_execnz .LBB24_31
.LBB24_26:
	s_or_b32 exec_lo, exec_lo, s0
	s_and_saveexec_b32 s0, s7
	s_cbranch_execnz .LBB24_32
.LBB24_27:
	s_endpgm
.LBB24_28:
	v_add_f32_e32 v48, v37, v45
	v_add_f32_e32 v49, v32, v40
	;; [unrolled: 1-line block ×8, first 2 shown]
	v_fma_mixlo_f16 v51, s10, v50, 0
	v_fma_mixlo_f16 v50, s10, v53, 0
	;; [unrolled: 1-line block ×4, first 2 shown]
	v_fma_mixhi_f16 v51, s10, v56, 0
	v_fma_mixhi_f16 v50, s10, v55, 0
	;; [unrolled: 1-line block ×4, first 2 shown]
	global_store_dwordx4 v64, v[48:51], s[4:5]
	s_or_b32 exec_lo, exec_lo, s0
	s_and_saveexec_b32 s0, s1
	s_cbranch_execz .LBB24_24
.LBB24_29:
	v_sub_f32_e32 v48, v72, v89
	v_sub_f32_e32 v49, v74, v91
	;; [unrolled: 1-line block ×8, first 2 shown]
	v_fma_mixlo_f16 v51, s10, v50, 0
	v_fma_mixlo_f16 v50, s10, v53, 0
	;; [unrolled: 1-line block ×4, first 2 shown]
	v_fma_mixhi_f16 v51, s10, v56, 0
	v_fma_mixhi_f16 v50, s10, v55, 0
	;; [unrolled: 1-line block ×4, first 2 shown]
	global_store_dwordx4 v66, v[48:51], s[4:5]
	s_or_b32 exec_lo, exec_lo, s0
	s_and_saveexec_b32 s0, s3
	s_cbranch_execz .LBB24_25
.LBB24_30:
	v_sub_f32_e32 v0, v0, v12
	v_sub_f32_e32 v12, v1, v13
	;; [unrolled: 1-line block ×8, first 2 shown]
	v_fma_mixlo_f16 v3, s10, v2, 0
	v_fma_mixlo_f16 v2, s10, v5, 0
	;; [unrolled: 1-line block ×4, first 2 shown]
	v_fma_mixhi_f16 v3, s10, v6, 0
	v_fma_mixhi_f16 v2, s10, v4, 0
	v_fma_mixhi_f16 v1, s10, v7, 0
	v_fma_mixhi_f16 v0, s10, v12, 0
	global_store_dwordx4 v68, v[0:3], s[4:5]
	s_or_b32 exec_lo, exec_lo, s0
	s_and_saveexec_b32 s0, s9
	s_cbranch_execz .LBB24_26
.LBB24_31:
	v_sub_f32_e32 v0, v20, v28
	v_sub_f32_e32 v1, v22, v30
	;; [unrolled: 1-line block ×8, first 2 shown]
	v_fma_mixlo_f16 v3, s10, v2, 0
	v_fma_mixlo_f16 v2, s10, v5, 0
	v_fma_mixlo_f16 v1, s10, v1, 0
	v_fma_mixlo_f16 v0, s10, v0, 0
	v_fma_mixhi_f16 v3, s10, v8, 0
	v_fma_mixhi_f16 v2, s10, v7, 0
	;; [unrolled: 1-line block ×4, first 2 shown]
	global_store_dwordx4 v69, v[0:3], s[4:5]
	s_or_b32 exec_lo, exec_lo, s0
	s_and_saveexec_b32 s0, s7
	s_cbranch_execz .LBB24_27
.LBB24_32:
	v_sub_f32_e32 v0, v37, v45
	v_sub_f32_e32 v1, v39, v47
	;; [unrolled: 1-line block ×8, first 2 shown]
	v_fma_mixlo_f16 v3, s10, v1, 0
	v_fma_mixlo_f16 v2, s10, v2, 0
	;; [unrolled: 1-line block ×4, first 2 shown]
	v_fma_mixhi_f16 v3, s10, v8, 0
	v_fma_mixhi_f16 v2, s10, v7, 0
	;; [unrolled: 1-line block ×4, first 2 shown]
	global_store_dwordx4 v70, v[0:3], s[4:5]
	s_endpgm
	.section	.rodata,"a",@progbits
	.p2align	6, 0x0
	.amdhsa_kernel _Z30fast_hadamard_transform_kernelI37fast_hadamard_transform_kernel_traitsILi256ELi14E6__halfEEv18HadamardParamsBase
		.amdhsa_group_segment_fixed_size 0
		.amdhsa_private_segment_fixed_size 0
		.amdhsa_kernarg_size 312
		.amdhsa_user_sgpr_count 6
		.amdhsa_user_sgpr_private_segment_buffer 1
		.amdhsa_user_sgpr_dispatch_ptr 0
		.amdhsa_user_sgpr_queue_ptr 0
		.amdhsa_user_sgpr_kernarg_segment_ptr 1
		.amdhsa_user_sgpr_dispatch_id 0
		.amdhsa_user_sgpr_flat_scratch_init 0
		.amdhsa_user_sgpr_private_segment_size 0
		.amdhsa_wavefront_size32 1
		.amdhsa_uses_dynamic_stack 0
		.amdhsa_system_sgpr_private_segment_wavefront_offset 0
		.amdhsa_system_sgpr_workgroup_id_x 1
		.amdhsa_system_sgpr_workgroup_id_y 0
		.amdhsa_system_sgpr_workgroup_id_z 0
		.amdhsa_system_sgpr_workgroup_info 0
		.amdhsa_system_vgpr_workitem_id 0
		.amdhsa_next_free_vgpr 138
		.amdhsa_next_free_sgpr 24
		.amdhsa_reserve_vcc 1
		.amdhsa_reserve_flat_scratch 0
		.amdhsa_float_round_mode_32 0
		.amdhsa_float_round_mode_16_64 0
		.amdhsa_float_denorm_mode_32 3
		.amdhsa_float_denorm_mode_16_64 3
		.amdhsa_dx10_clamp 1
		.amdhsa_ieee_mode 1
		.amdhsa_fp16_overflow 0
		.amdhsa_workgroup_processor_mode 1
		.amdhsa_memory_ordered 1
		.amdhsa_forward_progress 1
		.amdhsa_shared_vgpr_count 0
		.amdhsa_exception_fp_ieee_invalid_op 0
		.amdhsa_exception_fp_denorm_src 0
		.amdhsa_exception_fp_ieee_div_zero 0
		.amdhsa_exception_fp_ieee_overflow 0
		.amdhsa_exception_fp_ieee_underflow 0
		.amdhsa_exception_fp_ieee_inexact 0
		.amdhsa_exception_int_div_zero 0
	.end_amdhsa_kernel
	.section	.text._Z30fast_hadamard_transform_kernelI37fast_hadamard_transform_kernel_traitsILi256ELi14E6__halfEEv18HadamardParamsBase,"axG",@progbits,_Z30fast_hadamard_transform_kernelI37fast_hadamard_transform_kernel_traitsILi256ELi14E6__halfEEv18HadamardParamsBase,comdat
.Lfunc_end24:
	.size	_Z30fast_hadamard_transform_kernelI37fast_hadamard_transform_kernel_traitsILi256ELi14E6__halfEEv18HadamardParamsBase, .Lfunc_end24-_Z30fast_hadamard_transform_kernelI37fast_hadamard_transform_kernel_traitsILi256ELi14E6__halfEEv18HadamardParamsBase
                                        ; -- End function
	.set _Z30fast_hadamard_transform_kernelI37fast_hadamard_transform_kernel_traitsILi256ELi14E6__halfEEv18HadamardParamsBase.num_vgpr, 138
	.set _Z30fast_hadamard_transform_kernelI37fast_hadamard_transform_kernel_traitsILi256ELi14E6__halfEEv18HadamardParamsBase.num_agpr, 0
	.set _Z30fast_hadamard_transform_kernelI37fast_hadamard_transform_kernel_traitsILi256ELi14E6__halfEEv18HadamardParamsBase.numbered_sgpr, 24
	.set _Z30fast_hadamard_transform_kernelI37fast_hadamard_transform_kernel_traitsILi256ELi14E6__halfEEv18HadamardParamsBase.num_named_barrier, 0
	.set _Z30fast_hadamard_transform_kernelI37fast_hadamard_transform_kernel_traitsILi256ELi14E6__halfEEv18HadamardParamsBase.private_seg_size, 0
	.set _Z30fast_hadamard_transform_kernelI37fast_hadamard_transform_kernel_traitsILi256ELi14E6__halfEEv18HadamardParamsBase.uses_vcc, 1
	.set _Z30fast_hadamard_transform_kernelI37fast_hadamard_transform_kernel_traitsILi256ELi14E6__halfEEv18HadamardParamsBase.uses_flat_scratch, 0
	.set _Z30fast_hadamard_transform_kernelI37fast_hadamard_transform_kernel_traitsILi256ELi14E6__halfEEv18HadamardParamsBase.has_dyn_sized_stack, 0
	.set _Z30fast_hadamard_transform_kernelI37fast_hadamard_transform_kernel_traitsILi256ELi14E6__halfEEv18HadamardParamsBase.has_recursion, 0
	.set _Z30fast_hadamard_transform_kernelI37fast_hadamard_transform_kernel_traitsILi256ELi14E6__halfEEv18HadamardParamsBase.has_indirect_call, 0
	.section	.AMDGPU.csdata,"",@progbits
; Kernel info:
; codeLenInByte = 16284
; TotalNumSgprs: 26
; NumVgprs: 138
; ScratchSize: 0
; MemoryBound: 0
; FloatMode: 240
; IeeeMode: 1
; LDSByteSize: 0 bytes/workgroup (compile time only)
; SGPRBlocks: 0
; VGPRBlocks: 17
; NumSGPRsForWavesPerEU: 26
; NumVGPRsForWavesPerEU: 138
; Occupancy: 7
; WaveLimiterHint : 0
; COMPUTE_PGM_RSRC2:SCRATCH_EN: 0
; COMPUTE_PGM_RSRC2:USER_SGPR: 6
; COMPUTE_PGM_RSRC2:TRAP_HANDLER: 0
; COMPUTE_PGM_RSRC2:TGID_X_EN: 1
; COMPUTE_PGM_RSRC2:TGID_Y_EN: 0
; COMPUTE_PGM_RSRC2:TGID_Z_EN: 0
; COMPUTE_PGM_RSRC2:TIDIG_COMP_CNT: 0
	.section	.text._Z30fast_hadamard_transform_kernelI37fast_hadamard_transform_kernel_traitsILi256ELi15E6__halfEEv18HadamardParamsBase,"axG",@progbits,_Z30fast_hadamard_transform_kernelI37fast_hadamard_transform_kernel_traitsILi256ELi15E6__halfEEv18HadamardParamsBase,comdat
	.protected	_Z30fast_hadamard_transform_kernelI37fast_hadamard_transform_kernel_traitsILi256ELi15E6__halfEEv18HadamardParamsBase ; -- Begin function _Z30fast_hadamard_transform_kernelI37fast_hadamard_transform_kernel_traitsILi256ELi15E6__halfEEv18HadamardParamsBase
	.globl	_Z30fast_hadamard_transform_kernelI37fast_hadamard_transform_kernel_traitsILi256ELi15E6__halfEEv18HadamardParamsBase
	.p2align	8
	.type	_Z30fast_hadamard_transform_kernelI37fast_hadamard_transform_kernel_traitsILi256ELi15E6__halfEEv18HadamardParamsBase,@function
_Z30fast_hadamard_transform_kernelI37fast_hadamard_transform_kernel_traitsILi256ELi15E6__halfEEv18HadamardParamsBase: ; @_Z30fast_hadamard_transform_kernelI37fast_hadamard_transform_kernel_traitsILi256ELi15E6__halfEEv18HadamardParamsBase
; %bb.0:
	s_clause 0x2
	s_load_dwordx4 s[24:27], s[4:5], 0x10
	s_load_dword s29, s[4:5], 0x4
	s_load_dwordx4 s[20:23], s[4:5], 0x28
	s_mov_b64 s[38:39], s[2:3]
	s_mov_b64 s[36:37], s[0:1]
	s_load_dword s0, s[4:5], 0x44
	s_add_u32 s36, s36, s7
	s_addc_u32 s37, s37, 0
	s_ashr_i32 s28, s6, 31
	v_lshlrev_b32_e32 v6, 3, v0
	v_mov_b32_e32 v1, 0
	v_mov_b32_e32 v2, 0
	;; [unrolled: 1-line block ×8, first 2 shown]
	v_lshlrev_b32_e32 v146, 4, v0
	v_mov_b32_e32 v15, 0
	s_waitcnt lgkmcnt(0)
	s_mul_hi_u32 s1, s24, s6
	s_mul_i32 s2, s24, s28
	s_mul_i32 s3, s25, s6
	s_add_i32 s1, s1, s2
	s_mul_i32 s2, s24, s6
	s_add_i32 s3, s1, s3
	v_cmp_gt_u32_e64 s16, s29, v6
	s_lshl_b64 s[2:3], s[2:3], 1
	s_add_u32 s18, s20, s2
	s_addc_u32 s19, s21, s3
	s_and_saveexec_b32 s1, s16
	s_cbranch_execz .LBB25_2
; %bb.1:
	global_load_dwordx4 v[11:14], v146, s[18:19]
	s_waitcnt vmcnt(0)
	v_cvt_f32_f16_e32 v15, v11
	v_cvt_f32_f16_sdwa v11, v11 dst_sel:DWORD dst_unused:UNUSED_PAD src0_sel:WORD_1
	v_cvt_f32_f16_e32 v8, v12
	v_cvt_f32_f16_sdwa v7, v12 dst_sel:DWORD dst_unused:UNUSED_PAD src0_sel:WORD_1
	;; [unrolled: 2-line block ×4, first 2 shown]
.LBB25_2:
	s_or_b32 exec_lo, exec_lo, s1
	s_and_b32 s20, 0xffff, s0
	v_mov_b32_e32 v6, 0
	v_add_nc_u32_e32 v12, s20, v0
	v_mov_b32_e32 v9, 0
	v_mov_b32_e32 v10, 0
	;; [unrolled: 1-line block ×4, first 2 shown]
	v_lshlrev_b32_e32 v13, 3, v12
	v_mov_b32_e32 v21, 0
	v_lshlrev_b32_e32 v14, 4, v12
	v_mov_b32_e32 v22, 0
	v_cmp_gt_u32_e64 s15, s29, v13
	buffer_store_dword v14, off, s[36:39], 0 offset:68 ; 4-byte Folded Spill
	s_and_saveexec_b32 s0, s15
	s_cbranch_execz .LBB25_4
; %bb.3:
	v_lshlrev_b32_e32 v1, 4, v12
	global_load_dwordx4 v[17:20], v1, s[18:19]
	s_waitcnt vmcnt(0)
	v_cvt_f32_f16_e32 v22, v17
	v_cvt_f32_f16_sdwa v21, v17 dst_sel:DWORD dst_unused:UNUSED_PAD src0_sel:WORD_1
	v_cvt_f32_f16_e32 v17, v18
	v_cvt_f32_f16_sdwa v16, v18 dst_sel:DWORD dst_unused:UNUSED_PAD src0_sel:WORD_1
	v_cvt_f32_f16_e32 v10, v19
	v_cvt_f32_f16_sdwa v9, v19 dst_sel:DWORD dst_unused:UNUSED_PAD src0_sel:WORD_1
	v_cvt_f32_f16_e32 v6, v20
	v_cvt_f32_f16_sdwa v1, v20 dst_sel:DWORD dst_unused:UNUSED_PAD src0_sel:WORD_1
.LBB25_4:
	s_or_b32 exec_lo, exec_lo, s0
	v_add_nc_u32_e32 v20, s20, v12
	v_mov_b32_e32 v12, 0
	v_mov_b32_e32 v13, 0
	v_mov_b32_e32 v14, 0
	v_mov_b32_e32 v18, 0
	v_lshlrev_b32_e32 v25, 3, v20
	v_mov_b32_e32 v19, 0
	v_mov_b32_e32 v23, 0
	v_mov_b32_e32 v24, 0
	v_lshlrev_b32_e32 v26, 4, v20
	v_cmp_gt_u32_e64 s13, s29, v25
	v_mov_b32_e32 v30, 0
	v_mov_b32_e32 v31, 0
	buffer_store_dword v26, off, s[36:39], 0 offset:64 ; 4-byte Folded Spill
	s_and_saveexec_b32 s0, s13
	s_cbranch_execz .LBB25_6
; %bb.5:
	v_lshlrev_b32_e32 v13, 4, v20
	global_load_dwordx4 v[24:27], v13, s[18:19]
	s_waitcnt vmcnt(0)
	v_cvt_f32_f16_e32 v31, v24
	v_cvt_f32_f16_sdwa v30, v24 dst_sel:DWORD dst_unused:UNUSED_PAD src0_sel:WORD_1
	v_cvt_f32_f16_e32 v24, v25
	v_cvt_f32_f16_sdwa v23, v25 dst_sel:DWORD dst_unused:UNUSED_PAD src0_sel:WORD_1
	v_cvt_f32_f16_e32 v19, v26
	v_cvt_f32_f16_sdwa v18, v26 dst_sel:DWORD dst_unused:UNUSED_PAD src0_sel:WORD_1
	v_cvt_f32_f16_e32 v14, v27
	v_cvt_f32_f16_sdwa v13, v27 dst_sel:DWORD dst_unused:UNUSED_PAD src0_sel:WORD_1
.LBB25_6:
	s_or_b32 exec_lo, exec_lo, s0
	v_add_nc_u32_e32 v27, s20, v20
	v_mov_b32_e32 v20, 0
	v_mov_b32_e32 v25, 0
	v_mov_b32_e32 v26, 0
	v_mov_b32_e32 v32, 0
	v_lshlrev_b32_e32 v28, 3, v27
	v_mov_b32_e32 v33, 0
	v_mov_b32_e32 v37, 0
	v_lshlrev_b32_e32 v29, 4, v27
	v_mov_b32_e32 v38, 0
	v_cmp_gt_u32_e64 s7, s29, v28
	buffer_store_dword v29, off, s[36:39], 0 offset:32 ; 4-byte Folded Spill
	s_and_saveexec_b32 s0, s7
	s_cbranch_execz .LBB25_8
; %bb.7:
	v_lshlrev_b32_e32 v12, 4, v27
	global_load_dwordx4 v[33:36], v12, s[18:19]
	s_waitcnt vmcnt(0)
	v_cvt_f32_f16_e32 v38, v33
	v_cvt_f32_f16_sdwa v37, v33 dst_sel:DWORD dst_unused:UNUSED_PAD src0_sel:WORD_1
	v_cvt_f32_f16_e32 v33, v34
	v_cvt_f32_f16_sdwa v32, v34 dst_sel:DWORD dst_unused:UNUSED_PAD src0_sel:WORD_1
	v_cvt_f32_f16_e32 v26, v35
	v_cvt_f32_f16_sdwa v25, v35 dst_sel:DWORD dst_unused:UNUSED_PAD src0_sel:WORD_1
	v_cvt_f32_f16_e32 v20, v36
	v_cvt_f32_f16_sdwa v12, v36 dst_sel:DWORD dst_unused:UNUSED_PAD src0_sel:WORD_1
.LBB25_8:
	s_or_b32 exec_lo, exec_lo, s0
	v_add_nc_u32_e32 v36, s20, v27
	v_mov_b32_e32 v27, 0
	v_mov_b32_e32 v28, 0
	v_mov_b32_e32 v29, 0
	v_mov_b32_e32 v34, 0
	v_lshlrev_b32_e32 v41, 3, v36
	v_mov_b32_e32 v35, 0
	v_mov_b32_e32 v39, 0
	v_mov_b32_e32 v40, 0
	v_lshlrev_b32_e32 v42, 4, v36
	v_cmp_gt_u32_e64 s3, s29, v41
	v_mov_b32_e32 v46, 0
	v_mov_b32_e32 v47, 0
	buffer_store_dword v42, off, s[36:39], 0 offset:28 ; 4-byte Folded Spill
	s_and_saveexec_b32 s0, s3
	s_cbranch_execz .LBB25_10
; %bb.9:
	v_lshlrev_b32_e32 v28, 4, v36
	global_load_dwordx4 v[40:43], v28, s[18:19]
	s_waitcnt vmcnt(0)
	v_cvt_f32_f16_e32 v47, v40
	v_cvt_f32_f16_sdwa v46, v40 dst_sel:DWORD dst_unused:UNUSED_PAD src0_sel:WORD_1
	v_cvt_f32_f16_e32 v40, v41
	v_cvt_f32_f16_sdwa v39, v41 dst_sel:DWORD dst_unused:UNUSED_PAD src0_sel:WORD_1
	v_cvt_f32_f16_e32 v35, v42
	v_cvt_f32_f16_sdwa v34, v42 dst_sel:DWORD dst_unused:UNUSED_PAD src0_sel:WORD_1
	v_cvt_f32_f16_e32 v29, v43
	v_cvt_f32_f16_sdwa v28, v43 dst_sel:DWORD dst_unused:UNUSED_PAD src0_sel:WORD_1
.LBB25_10:
	s_or_b32 exec_lo, exec_lo, s0
	v_add_nc_u32_e32 v43, s20, v36
	v_mov_b32_e32 v36, 0
	v_mov_b32_e32 v41, 0
	v_mov_b32_e32 v42, 0
	v_mov_b32_e32 v48, 0
	v_lshlrev_b32_e32 v44, 3, v43
	v_mov_b32_e32 v49, 0
	;; [unrolled: 58-line block ×3, first 2 shown]
	v_mov_b32_e32 v69, 0
	v_lshlrev_b32_e32 v61, 4, v59
	v_mov_b32_e32 v70, 0
	v_cmp_gt_u32_e32 vcc_lo, s29, v60
	buffer_store_dword v61, off, s[36:39], 0 offset:8 ; 4-byte Folded Spill
	s_and_saveexec_b32 s1, vcc_lo
	s_cbranch_execz .LBB25_16
; %bb.15:
	v_lshlrev_b32_e32 v43, 4, v59
	global_load_dwordx4 v[65:68], v43, s[18:19]
	s_waitcnt vmcnt(0)
	v_cvt_f32_f16_e32 v70, v65
	v_cvt_f32_f16_sdwa v69, v65 dst_sel:DWORD dst_unused:UNUSED_PAD src0_sel:WORD_1
	v_cvt_f32_f16_e32 v65, v66
	v_cvt_f32_f16_sdwa v64, v66 dst_sel:DWORD dst_unused:UNUSED_PAD src0_sel:WORD_1
	;; [unrolled: 2-line block ×4, first 2 shown]
.LBB25_16:
	s_or_b32 exec_lo, exec_lo, s1
	v_add_nc_u32_e32 v68, s20, v59
	v_mov_b32_e32 v59, 0
	v_mov_b32_e32 v60, 0
	;; [unrolled: 1-line block ×4, first 2 shown]
	v_lshlrev_b32_e32 v73, 3, v68
	v_mov_b32_e32 v67, 0
	v_mov_b32_e32 v71, 0
	;; [unrolled: 1-line block ×3, first 2 shown]
	v_lshlrev_b32_e32 v74, 4, v68
	v_cmp_gt_u32_e64 s1, s29, v73
	v_mov_b32_e32 v78, 0
	v_mov_b32_e32 v79, 0
	buffer_store_dword v74, off, s[36:39], 0 offset:16 ; 4-byte Folded Spill
	s_and_saveexec_b32 s8, s1
	s_cbranch_execz .LBB25_18
; %bb.17:
	v_lshlrev_b32_e32 v60, 4, v68
	global_load_dwordx4 v[72:75], v60, s[18:19]
	s_waitcnt vmcnt(0)
	v_cvt_f32_f16_e32 v79, v72
	v_cvt_f32_f16_sdwa v78, v72 dst_sel:DWORD dst_unused:UNUSED_PAD src0_sel:WORD_1
	v_cvt_f32_f16_e32 v72, v73
	v_cvt_f32_f16_sdwa v71, v73 dst_sel:DWORD dst_unused:UNUSED_PAD src0_sel:WORD_1
	;; [unrolled: 2-line block ×4, first 2 shown]
.LBB25_18:
	s_or_b32 exec_lo, exec_lo, s8
	v_add_nc_u32_e32 v75, s20, v68
	v_mov_b32_e32 v68, 0
	v_mov_b32_e32 v73, 0
	;; [unrolled: 1-line block ×4, first 2 shown]
	v_lshlrev_b32_e32 v76, 3, v75
	v_mov_b32_e32 v81, 0
	v_mov_b32_e32 v85, 0
	v_lshlrev_b32_e32 v77, 4, v75
	v_mov_b32_e32 v86, 0
	v_cmp_gt_u32_e64 s17, s29, v76
	buffer_store_dword v77, off, s[36:39], 0 offset:24 ; 4-byte Folded Spill
	s_and_saveexec_b32 s8, s17
	s_cbranch_execz .LBB25_20
; %bb.19:
	v_lshlrev_b32_e32 v59, 4, v75
	global_load_dwordx4 v[81:84], v59, s[18:19]
	s_waitcnt vmcnt(0)
	v_cvt_f32_f16_e32 v86, v81
	v_cvt_f32_f16_sdwa v85, v81 dst_sel:DWORD dst_unused:UNUSED_PAD src0_sel:WORD_1
	v_cvt_f32_f16_e32 v81, v82
	v_cvt_f32_f16_sdwa v80, v82 dst_sel:DWORD dst_unused:UNUSED_PAD src0_sel:WORD_1
	;; [unrolled: 2-line block ×4, first 2 shown]
.LBB25_20:
	s_or_b32 exec_lo, exec_lo, s8
	v_add_nc_u32_e32 v84, s20, v75
	v_mov_b32_e32 v75, 0
	v_mov_b32_e32 v76, 0
	;; [unrolled: 1-line block ×4, first 2 shown]
	v_lshlrev_b32_e32 v89, 3, v84
	v_mov_b32_e32 v83, 0
	v_mov_b32_e32 v87, 0
	;; [unrolled: 1-line block ×3, first 2 shown]
	v_lshlrev_b32_e32 v90, 4, v84
	v_cmp_gt_u32_e64 s8, s29, v89
	v_mov_b32_e32 v94, 0
	v_mov_b32_e32 v95, 0
	buffer_store_dword v90, off, s[36:39], 0 offset:36 ; 4-byte Folded Spill
	s_and_saveexec_b32 s9, s8
	s_cbranch_execz .LBB25_22
; %bb.21:
	v_lshlrev_b32_e32 v76, 4, v84
	global_load_dwordx4 v[88:91], v76, s[18:19]
	s_waitcnt vmcnt(0)
	v_cvt_f32_f16_e32 v95, v88
	v_cvt_f32_f16_sdwa v94, v88 dst_sel:DWORD dst_unused:UNUSED_PAD src0_sel:WORD_1
	v_cvt_f32_f16_e32 v88, v89
	v_cvt_f32_f16_sdwa v87, v89 dst_sel:DWORD dst_unused:UNUSED_PAD src0_sel:WORD_1
	;; [unrolled: 2-line block ×4, first 2 shown]
.LBB25_22:
	s_or_b32 exec_lo, exec_lo, s9
	v_add_nc_u32_e32 v91, s20, v84
	v_mov_b32_e32 v84, 0
	v_mov_b32_e32 v89, 0
	;; [unrolled: 1-line block ×4, first 2 shown]
	v_lshlrev_b32_e32 v92, 3, v91
	v_mov_b32_e32 v97, 0
	v_mov_b32_e32 v100, 0
	v_lshlrev_b32_e32 v93, 4, v91
	v_mov_b32_e32 v101, 0
	v_cmp_gt_u32_e64 s9, s29, v92
	buffer_store_dword v93, off, s[36:39], 0 offset:40 ; 4-byte Folded Spill
	s_and_saveexec_b32 s10, s9
	s_cbranch_execz .LBB25_24
; %bb.23:
	v_lshlrev_b32_e32 v75, 4, v91
	global_load_dwordx4 v[102:105], v75, s[18:19]
	s_waitcnt vmcnt(0)
	v_cvt_f32_f16_e32 v101, v102
	v_cvt_f32_f16_sdwa v100, v102 dst_sel:DWORD dst_unused:UNUSED_PAD src0_sel:WORD_1
	v_cvt_f32_f16_e32 v97, v103
	v_cvt_f32_f16_sdwa v96, v103 dst_sel:DWORD dst_unused:UNUSED_PAD src0_sel:WORD_1
	;; [unrolled: 2-line block ×4, first 2 shown]
.LBB25_24:
	s_or_b32 exec_lo, exec_lo, s10
	v_add_nc_u32_e32 v102, s20, v91
	v_mov_b32_e32 v93, 0
	v_mov_b32_e32 v91, 0
	v_mov_b32_e32 v92, 0
	v_mov_b32_e32 v98, 0
	v_lshlrev_b32_e32 v105, 3, v102
	v_mov_b32_e32 v99, 0
	v_mov_b32_e32 v103, 0
	;; [unrolled: 1-line block ×3, first 2 shown]
	v_lshlrev_b32_e32 v106, 4, v102
	v_cmp_gt_u32_e64 s10, s29, v105
	v_mov_b32_e32 v107, 0
	v_mov_b32_e32 v108, 0
	buffer_store_dword v106, off, s[36:39], 0 offset:44 ; 4-byte Folded Spill
	s_and_saveexec_b32 s11, s10
	s_cbranch_execz .LBB25_26
; %bb.25:
	v_lshlrev_b32_e32 v91, 4, v102
	global_load_dwordx4 v[109:112], v91, s[18:19]
	s_waitcnt vmcnt(0)
	v_cvt_f32_f16_e32 v108, v109
	v_cvt_f32_f16_sdwa v107, v109 dst_sel:DWORD dst_unused:UNUSED_PAD src0_sel:WORD_1
	v_cvt_f32_f16_e32 v104, v110
	v_cvt_f32_f16_sdwa v103, v110 dst_sel:DWORD dst_unused:UNUSED_PAD src0_sel:WORD_1
	;; [unrolled: 2-line block ×4, first 2 shown]
.LBB25_26:
	s_or_b32 exec_lo, exec_lo, s11
	v_add_nc_u32_e32 v110, s20, v102
	v_mov_b32_e32 v102, 0
	v_mov_b32_e32 v105, 0
	;; [unrolled: 1-line block ×4, first 2 shown]
	v_lshlrev_b32_e32 v109, 3, v110
	v_mov_b32_e32 v113, 0
	v_mov_b32_e32 v116, 0
	;; [unrolled: 1-line block ×3, first 2 shown]
	v_cmp_gt_u32_e64 s11, s29, v109
	s_and_saveexec_b32 s14, s11
	s_cbranch_execz .LBB25_28
; %bb.27:
	v_mov_b32_e32 v111, 0
	v_lshlrev_b64 v[105:106], 4, v[110:111]
	v_add_co_u32 v105, s12, s18, v105
	v_add_co_ci_u32_e64 v106, null, s19, v106, s12
	global_load_dwordx4 v[118:121], v[105:106], off
	s_waitcnt vmcnt(0)
	v_cvt_f32_f16_e32 v117, v118
	v_cvt_f32_f16_sdwa v116, v118 dst_sel:DWORD dst_unused:UNUSED_PAD src0_sel:WORD_1
	v_cvt_f32_f16_e32 v113, v119
	v_cvt_f32_f16_sdwa v112, v119 dst_sel:DWORD dst_unused:UNUSED_PAD src0_sel:WORD_1
	v_cvt_f32_f16_e32 v106, v120
	v_cvt_f32_f16_sdwa v105, v120 dst_sel:DWORD dst_unused:UNUSED_PAD src0_sel:WORD_1
	v_cvt_f32_f16_e32 v102, v121
	v_cvt_f32_f16_sdwa v93, v121 dst_sel:DWORD dst_unused:UNUSED_PAD src0_sel:WORD_1
.LBB25_28:
	s_or_b32 exec_lo, exec_lo, s14
	v_mov_b32_e32 v109, v110
	v_mov_b32_e32 v111, 0
	;; [unrolled: 1-line block ×5, first 2 shown]
	buffer_store_dword v109, off, s[36:39], 0 offset:48 ; 4-byte Folded Spill
	buffer_store_dword v110, off, s[36:39], 0 offset:52 ; 4-byte Folded Spill
	v_mov_b32_e32 v109, 0
	v_mov_b32_e32 v120, 0
	v_mov_b32_e32 v123, 0
	v_mov_b32_e32 v124, 0
	v_add_nc_u32_e32 v121, s20, v110
	v_mov_b32_e32 v110, 0
	v_lshlrev_b32_e32 v118, 3, v121
	v_cmp_gt_u32_e64 s12, s29, v118
	s_and_saveexec_b32 s21, s12
	s_cbranch_execz .LBB25_30
; %bb.29:
	v_mov_b32_e32 v122, 0
	v_lshlrev_b64 v[110:111], 4, v[121:122]
	v_add_co_u32 v110, s14, s18, v110
	v_add_co_ci_u32_e64 v111, null, s19, v111, s14
	global_load_dwordx4 v[125:128], v[110:111], off
	s_waitcnt vmcnt(0)
	v_cvt_f32_f16_e32 v124, v125
	v_cvt_f32_f16_sdwa v123, v125 dst_sel:DWORD dst_unused:UNUSED_PAD src0_sel:WORD_1
	v_cvt_f32_f16_e32 v120, v126
	v_cvt_f32_f16_sdwa v119, v126 dst_sel:DWORD dst_unused:UNUSED_PAD src0_sel:WORD_1
	;; [unrolled: 2-line block ×4, first 2 shown]
.LBB25_30:
	s_or_b32 exec_lo, exec_lo, s21
	v_add_nc_u32_e32 v125, s20, v121
	v_mov_b32_e32 v118, v121
	v_mov_b32_e32 v121, 0
	;; [unrolled: 1-line block ×5, first 2 shown]
	v_lshlrev_b32_e32 v128, 3, v125
	buffer_store_dword v118, off, s[36:39], 0 offset:56 ; 4-byte Folded Spill
	buffer_store_dword v119, off, s[36:39], 0 offset:60 ; 4-byte Folded Spill
	v_mov_b32_e32 v118, 0
	v_mov_b32_e32 v125, 0
	buffer_store_dword v122, off, s[36:39], 0 ; 4-byte Folded Spill
	buffer_store_dword v123, off, s[36:39], 0 offset:4 ; 4-byte Folded Spill
	v_mov_b32_e32 v122, 0
	v_cmp_gt_u32_e64 s14, s29, v128
	v_mov_b32_e32 v128, 0
	s_and_saveexec_b32 s20, s14
	s_cbranch_execz .LBB25_32
; %bb.31:
	s_clause 0x1
	buffer_load_dword v121, off, s[36:39], 0
	buffer_load_dword v122, off, s[36:39], 0 offset:4
	s_waitcnt vmcnt(0)
	v_mov_b32_e32 v122, 0
	v_mov_b32_e32 v109, v121
	v_lshlrev_b64 v[121:122], 4, v[121:122]
	buffer_store_dword v109, off, s[36:39], 0 ; 4-byte Folded Spill
	buffer_store_dword v110, off, s[36:39], 0 offset:4 ; 4-byte Folded Spill
	v_add_co_u32 v121, s18, s18, v121
	v_add_co_ci_u32_e64 v122, null, s19, v122, s18
	global_load_dwordx4 v[129:132], v[121:122], off
	s_waitcnt vmcnt(0)
	v_cvt_f32_f16_e32 v128, v129
	v_cvt_f32_f16_sdwa v127, v129 dst_sel:DWORD dst_unused:UNUSED_PAD src0_sel:WORD_1
	v_cvt_f32_f16_e32 v126, v130
	v_cvt_f32_f16_sdwa v125, v130 dst_sel:DWORD dst_unused:UNUSED_PAD src0_sel:WORD_1
	;; [unrolled: 2-line block ×4, first 2 shown]
.LBB25_32:
	s_or_b32 exec_lo, exec_lo, s20
	v_add_f32_e32 v129, v15, v11
	v_sub_f32_e32 v11, v15, v11
	v_add_f32_e32 v15, v22, v21
	v_sub_f32_e32 v21, v22, v21
	;; [unrolled: 2-line block ×112, first 2 shown]
	v_add_f32_e32 v111, v4, v2
	v_add_f32_e32 v127, v9, v1
	v_sub_f32_e32 v1, v9, v1
	v_add_f32_e32 v133, v25, v12
	v_add_f32_e32 v134, v34, v28
	;; [unrolled: 1-line block ×3, first 2 shown]
	v_sub_f32_e32 v27, v41, v27
	v_add_f32_e32 v41, v50, v44
	v_sub_f32_e32 v44, v50, v44
	v_add_f32_e32 v50, v57, v43
	;; [unrolled: 2-line block ×4, first 2 shown]
	v_sub_f32_e32 v18, v18, v13
	v_sub_f32_e32 v28, v34, v28
	;; [unrolled: 1-line block ×3, first 2 shown]
	v_add_f32_e32 v66, v73, v59
	v_sub_f32_e32 v59, v73, v59
	v_add_f32_e32 v136, v82, v76
	v_sub_f32_e32 v137, v82, v76
	;; [unrolled: 2-line block ×27, first 2 shown]
	v_mbcnt_lo_u32_b32 v1, -1, 0
	v_add_f32_e32 v82, v89, v75
	v_sub_f32_e32 v75, v89, v75
	v_add_f32_e32 v89, v98, v91
	v_sub_f32_e32 v91, v98, v91
	;; [unrolled: 2-line block ×9, first 2 shown]
	v_xor_b32_e32 v18, 1, v1
	s_load_dword s21, s[4:5], 0x20
	v_sub_f32_e32 v25, v25, v12
	v_add_f32_e32 v166, v70, v52
	v_sub_f32_e32 v168, v70, v52
	v_cmp_gt_i32_e64 s4, 32, v18
	v_add_f32_e32 v141, v5, v15
	v_add_f32_e32 v52, v37, v25
	v_sub_f32_e32 v54, v37, v25
	v_sub_f32_e32 v142, v15, v5
	v_cndmask_b32_e64 v18, v1, v18, s4
	v_add_f32_e32 v30, v98, v103
	v_sub_f32_e32 v15, v103, v98
	v_add_f32_e32 v98, v33, v19
	v_sub_f32_e32 v103, v33, v19
	v_lshlrev_b32_e32 v37, 2, v18
	v_and_b32_e32 v18, 1, v0
	v_add_f32_e32 v139, v3, v8
	v_sub_f32_e32 v140, v8, v3
	v_add_f32_e32 v13, v83, v101
	ds_bpermute_b32 v19, v37, v121
	v_sub_f32_e32 v12, v101, v83
	v_add_f32_e32 v5, v114, v119
	v_sub_f32_e32 v3, v119, v114
	v_add_f32_e32 v114, v38, v20
	;; [unrolled: 2-line block ×5, first 2 shown]
	v_add_f32_e32 v61, v39, v28
	v_sub_f32_e32 v63, v39, v28
	v_add_f32_e32 v68, v46, v27
	v_sub_f32_e32 v70, v46, v27
	v_cmp_eq_u32_e64 s5, 0, v18
	ds_bpermute_b32 v22, v37, v26
	ds_bpermute_b32 v23, v37, v41
	;; [unrolled: 1-line block ×4, first 2 shown]
	v_add_f32_e32 v164, v66, v71
	v_sub_f32_e32 v165, v71, v66
	v_add_f32_e32 v66, v24, v14
	v_sub_f32_e32 v71, v24, v14
	v_sub_f32_e32 v24, v131, v115
	v_cndmask_b32_e64 v21, -v121, v121, s5
	ds_bpermute_b32 v25, v37, v20
	v_add_f32_e32 v51, v9, v11
	v_sub_f32_e32 v56, v11, v9
	v_add_f32_e32 v86, v97, v84
	v_sub_f32_e32 v88, v97, v84
	;; [unrolled: 2-line block ×6, first 2 shown]
	s_waitcnt lgkmcnt(0)
	v_add_f32_e32 v19, v21, v19
	v_cndmask_b32_e64 v21, -v26, v26, s5
	v_cndmask_b32_e64 v26, -v41, v41, s5
	ds_bpermute_b32 v41, v37, v48
	ds_bpermute_b32 v43, v37, v24
	;; [unrolled: 1-line block ×4, first 2 shown]
	v_cndmask_b32_e64 v39, -v118, v118, s5
	v_cndmask_b32_e64 v40, -v40, v40, s5
	ds_bpermute_b32 v53, v37, v50
	v_add_f32_e32 v80, v82, v85
	v_sub_f32_e32 v82, v85, v82
	v_add_f32_e32 v85, v89, v96
	v_sub_f32_e32 v32, v96, v89
	v_cndmask_b32_e64 v20, -v20, v20, s5
	v_add_f32_e32 v96, v21, v22
	v_add_f32_e32 v97, v26, v23
	;; [unrolled: 1-line block ×4, first 2 shown]
	v_cndmask_b32_e64 v23, -v48, v48, s5
	v_cndmask_b32_e64 v26, -v42, v42, s5
	ds_bpermute_b32 v28, v37, v29
	ds_bpermute_b32 v39, v37, v129
	;; [unrolled: 1-line block ×5, first 2 shown]
	v_add_f32_e32 v20, v20, v25
	v_cndmask_b32_e64 v24, -v24, v24, s5
	v_cndmask_b32_e64 v25, -v138, v138, s5
	v_add_f32_e32 v176, v100, v91
	v_sub_f32_e32 v177, v100, v91
	v_cndmask_b32_e64 v27, -v50, v50, s5
	s_waitcnt lgkmcnt(9)
	v_add_f32_e32 v100, v23, v41
	s_waitcnt lgkmcnt(8)
	v_add_f32_e32 v101, v24, v43
	;; [unrolled: 2-line block ×4, first 2 shown]
	v_cndmask_b32_e64 v26, -v29, v29, s5
	v_cndmask_b32_e64 v29, -v49, v49, s5
	ds_bpermute_b32 v44, v37, v51
	ds_bpermute_b32 v49, v37, v45
	s_waitcnt lgkmcnt(7)
	v_add_f32_e32 v25, v27, v53
	v_cndmask_b32_e64 v27, -v129, v129, s5
	v_cndmask_b32_e64 v41, -v55, v55, s5
	;; [unrolled: 1-line block ×3, first 2 shown]
	ds_bpermute_b32 v43, v37, v139
	ds_bpermute_b32 v46, v37, v57
	;; [unrolled: 1-line block ×3, first 2 shown]
	v_add_f32_e32 v11, v105, v112
	v_sub_f32_e32 v10, v112, v105
	v_add_f32_e32 v33, v104, v90
	v_sub_f32_e32 v35, v104, v90
	s_waitcnt lgkmcnt(9)
	v_add_f32_e32 v104, v26, v28
	s_waitcnt lgkmcnt(8)
	v_add_f32_e32 v105, v27, v39
	;; [unrolled: 2-line block ×5, first 2 shown]
	v_cndmask_b32_e64 v36, -v51, v51, s5
	v_cndmask_b32_e64 v40, -v45, v45, s5
	ds_bpermute_b32 v42, v37, v56
	ds_bpermute_b32 v45, v37, v64
	;; [unrolled: 1-line block ×4, first 2 shown]
	v_add_f32_e32 v38, v123, v109
	v_sub_f32_e32 v18, v123, v109
	v_cndmask_b32_e64 v29, -v139, v139, s5
	v_cndmask_b32_e64 v39, -v57, v57, s5
	;; [unrolled: 1-line block ×3, first 2 shown]
	ds_bpermute_b32 v48, v37, v47
	s_waitcnt lgkmcnt(9)
	v_add_f32_e32 v109, v36, v44
	s_waitcnt lgkmcnt(8)
	v_add_f32_e32 v36, v40, v49
	ds_bpermute_b32 v49, v37, v52
	ds_bpermute_b32 v55, v37, v65
	v_add_f32_e32 v8, v92, v108
	v_sub_f32_e32 v6, v108, v92
	s_waitcnt lgkmcnt(9)
	v_add_f32_e32 v108, v29, v43
	s_waitcnt lgkmcnt(8)
	v_add_f32_e32 v29, v39, v46
	;; [unrolled: 2-line block ×3, first 2 shown]
	v_cndmask_b32_e64 v40, -v56, v56, s5
	v_cndmask_b32_e64 v41, -v64, v64, s5
	;; [unrolled: 1-line block ×5, first 2 shown]
	ds_bpermute_b32 v47, v37, v66
	ds_bpermute_b32 v50, v37, v142
	;; [unrolled: 1-line block ×3, first 2 shown]
	s_waitcnt lgkmcnt(9)
	v_add_f32_e32 v112, v40, v42
	s_waitcnt lgkmcnt(8)
	v_add_f32_e32 v113, v41, v45
	;; [unrolled: 2-line block ×4, first 2 shown]
	ds_bpermute_b32 v51, v37, v54
	ds_bpermute_b32 v53, v37, v67
	;; [unrolled: 1-line block ×3, first 2 shown]
	v_cndmask_b32_e64 v44, -v52, v52, s5
	v_cndmask_b32_e64 v46, -v65, v65, s5
	ds_bpermute_b32 v52, v37, v143
	ds_bpermute_b32 v57, v37, v98
	v_add_f32_e32 v171, v132, v59
	v_sub_f32_e32 v132, v132, v59
	s_waitcnt lgkmcnt(10)
	v_add_f32_e32 v40, v43, v48
	v_cndmask_b32_e64 v43, -v66, v66, s5
	v_cndmask_b32_e64 v45, -v142, v142, s5
	;; [unrolled: 1-line block ×3, first 2 shown]
	s_waitcnt lgkmcnt(9)
	v_add_f32_e32 v117, v44, v49
	s_waitcnt lgkmcnt(8)
	v_add_f32_e32 v44, v46, v55
	ds_bpermute_b32 v55, v37, v72
	ds_bpermute_b32 v59, v37, v63
	v_add_f32_e32 v167, v69, v60
	v_sub_f32_e32 v170, v69, v60
	v_add_f32_e32 v90, v116, v110
	v_sub_f32_e32 v89, v116, v110
	s_waitcnt lgkmcnt(9)
	v_add_f32_e32 v116, v43, v47
	s_waitcnt lgkmcnt(8)
	v_add_f32_e32 v43, v45, v50
	;; [unrolled: 2-line block ×3, first 2 shown]
	v_cndmask_b32_e64 v46, -v54, v54, s5
	v_cndmask_b32_e64 v48, -v67, v67, s5
	;; [unrolled: 1-line block ×3, first 2 shown]
	ds_bpermute_b32 v54, v37, v144
	ds_bpermute_b32 v56, v37, v103
	;; [unrolled: 1-line block ×3, first 2 shown]
	v_cndmask_b32_e64 v47, -v143, v143, s5
	v_cndmask_b32_e64 v49, -v98, v98, s5
	s_waitcnt lgkmcnt(9)
	v_add_f32_e32 v120, v46, v51
	s_waitcnt lgkmcnt(8)
	v_add_f32_e32 v46, v48, v53
	;; [unrolled: 2-line block ×3, first 2 shown]
	ds_bpermute_b32 v58, v37, v114
	ds_bpermute_b32 v62, v37, v147
	s_waitcnt lgkmcnt(8)
	v_add_f32_e32 v121, v47, v52
	s_waitcnt lgkmcnt(7)
	v_add_f32_e32 v47, v49, v57
	v_cndmask_b32_e64 v50, -v72, v72, s5
	v_cndmask_b32_e64 v52, -v63, v63, s5
	ds_bpermute_b32 v57, v37, v95
	ds_bpermute_b32 v61, v37, v68
	;; [unrolled: 1-line block ×3, first 2 shown]
	v_cndmask_b32_e64 v49, -v144, v144, s5
	v_cndmask_b32_e64 v51, -v103, v103, s5
	;; [unrolled: 1-line block ×3, first 2 shown]
	s_waitcnt lgkmcnt(9)
	v_add_f32_e32 v125, v50, v55
	s_waitcnt lgkmcnt(8)
	v_add_f32_e32 v50, v52, v59
	ds_bpermute_b32 v59, v37, v119
	ds_bpermute_b32 v64, v37, v148
	;; [unrolled: 1-line block ×3, first 2 shown]
	s_waitcnt lgkmcnt(10)
	v_add_f32_e32 v124, v49, v54
	s_waitcnt lgkmcnt(9)
	v_add_f32_e32 v49, v51, v56
	;; [unrolled: 2-line block ×3, first 2 shown]
	v_cndmask_b32_e64 v53, -v114, v114, s5
	v_cndmask_b32_e64 v55, -v147, v147, s5
	ds_bpermute_b32 v60, v37, v70
	ds_bpermute_b32 v65, v37, v111
	v_cndmask_b32_e64 v52, -v95, v95, s5
	v_cndmask_b32_e64 v54, -v68, v68, s5
	;; [unrolled: 1-line block ×3, first 2 shown]
	s_waitcnt lgkmcnt(9)
	v_add_f32_e32 v131, v53, v58
	s_waitcnt lgkmcnt(8)
	v_add_f32_e32 v53, v55, v62
	ds_bpermute_b32 v62, v37, v84
	ds_bpermute_b32 v67, v37, v127
	;; [unrolled: 1-line block ×3, first 2 shown]
	s_waitcnt lgkmcnt(10)
	v_add_f32_e32 v129, v52, v57
	s_waitcnt lgkmcnt(9)
	v_add_f32_e32 v52, v54, v61
	;; [unrolled: 2-line block ×3, first 2 shown]
	v_cndmask_b32_e64 v55, -v119, v119, s5
	v_cndmask_b32_e64 v57, -v148, v148, s5
	;; [unrolled: 1-line block ×3, first 2 shown]
	ds_bpermute_b32 v63, v37, v150
	ds_bpermute_b32 v68, v37, v126
	v_cndmask_b32_e64 v56, -v70, v70, s5
	v_cndmask_b32_e64 v58, -v111, v111, s5
	s_waitcnt lgkmcnt(9)
	v_add_f32_e32 v148, v55, v59
	s_waitcnt lgkmcnt(8)
	v_add_f32_e32 v55, v57, v64
	s_waitcnt lgkmcnt(7)
	v_add_f32_e32 v57, v61, v66
	ds_bpermute_b32 v66, v37, v133
	ds_bpermute_b32 v71, v37, v106
	s_waitcnt lgkmcnt(8)
	v_add_f32_e32 v149, v56, v60
	s_waitcnt lgkmcnt(7)
	v_add_f32_e32 v56, v58, v65
	v_cndmask_b32_e64 v58, -v84, v84, s5
	v_cndmask_b32_e64 v60, -v127, v127, s5
	;; [unrolled: 1-line block ×3, first 2 shown]
	ds_bpermute_b32 v65, v37, v151
	ds_bpermute_b32 v70, v37, v128
	;; [unrolled: 1-line block ×3, first 2 shown]
	v_cndmask_b32_e64 v59, -v150, v150, s5
	v_cndmask_b32_e64 v61, -v126, v126, s5
	s_waitcnt lgkmcnt(9)
	v_add_f32_e32 v152, v58, v62
	s_waitcnt lgkmcnt(8)
	v_add_f32_e32 v58, v60, v67
	;; [unrolled: 2-line block ×3, first 2 shown]
	ds_bpermute_b32 v69, v37, v130
	ds_bpermute_b32 v84, v37, v157
	v_add_f32_e32 v173, v87, v137
	v_sub_f32_e32 v87, v87, v137
	v_add_f32_e32 v137, v94, v75
	v_sub_f32_e32 v94, v94, v75
	;; [unrolled: 2-line block ×3, first 2 shown]
	s_waitcnt lgkmcnt(8)
	v_add_f32_e32 v153, v59, v63
	s_waitcnt lgkmcnt(7)
	v_add_f32_e32 v59, v61, v68
	v_cndmask_b32_e64 v62, -v133, v133, s5
	v_cndmask_b32_e64 v64, -v106, v106, s5
	ds_bpermute_b32 v68, v37, v134
	ds_bpermute_b32 v75, v37, v115
	;; [unrolled: 1-line block ×3, first 2 shown]
	v_cndmask_b32_e64 v61, -v151, v151, s5
	v_cndmask_b32_e64 v63, -v128, v128, s5
	;; [unrolled: 1-line block ×3, first 2 shown]
	s_waitcnt lgkmcnt(9)
	v_add_f32_e32 v156, v62, v66
	s_waitcnt lgkmcnt(8)
	v_add_f32_e32 v62, v64, v71
	ds_bpermute_b32 v71, v37, v136
	ds_bpermute_b32 v95, v37, v160
	;; [unrolled: 1-line block ×3, first 2 shown]
	s_waitcnt lgkmcnt(10)
	v_add_f32_e32 v155, v61, v65
	s_waitcnt lgkmcnt(9)
	v_add_f32_e32 v61, v63, v70
	s_waitcnt lgkmcnt(8)
	v_add_f32_e32 v63, v67, v72
	v_cndmask_b32_e64 v65, -v130, v130, s5
	v_cndmask_b32_e64 v67, -v157, v157, s5
	ds_bpermute_b32 v72, v37, v167
	ds_bpermute_b32 v98, v37, v162
	v_cndmask_b32_e64 v64, -v134, v134, s5
	v_cndmask_b32_e64 v66, -v115, v115, s5
	;; [unrolled: 1-line block ×3, first 2 shown]
	s_waitcnt lgkmcnt(9)
	v_add_f32_e32 v159, v65, v69
	s_waitcnt lgkmcnt(8)
	v_add_f32_e32 v65, v67, v84
	ds_bpermute_b32 v84, v37, v170
	ds_bpermute_b32 v102, v37, v164
	;; [unrolled: 1-line block ×3, first 2 shown]
	s_waitcnt lgkmcnt(10)
	v_add_f32_e32 v158, v64, v68
	s_waitcnt lgkmcnt(9)
	v_add_f32_e32 v64, v66, v75
	;; [unrolled: 2-line block ×3, first 2 shown]
	v_cndmask_b32_e64 v67, -v136, v136, s5
	v_cndmask_b32_e64 v69, -v160, v160, s5
	;; [unrolled: 1-line block ×3, first 2 shown]
	ds_bpermute_b32 v93, v37, v161
	ds_bpermute_b32 v103, v37, v166
	v_cndmask_b32_e64 v68, -v167, v167, s5
	v_cndmask_b32_e64 v70, -v162, v162, s5
	s_waitcnt lgkmcnt(9)
	v_add_f32_e32 v162, v67, v71
	s_waitcnt lgkmcnt(8)
	v_add_f32_e32 v67, v69, v95
	;; [unrolled: 2-line block ×3, first 2 shown]
	ds_bpermute_b32 v99, v37, v165
	s_waitcnt lgkmcnt(7)
	v_add_f32_e32 v163, v68, v72
	s_waitcnt lgkmcnt(6)
	v_add_f32_e32 v68, v70, v98
	v_cndmask_b32_e64 v70, -v170, v170, s5
	v_cndmask_b32_e64 v72, -v164, v164, s5
	;; [unrolled: 1-line block ×3, first 2 shown]
	ds_bpermute_b32 v98, v37, v74
	ds_bpermute_b32 v107, v37, v168
	;; [unrolled: 1-line block ×3, first 2 shown]
	v_cndmask_b32_e64 v71, -v161, v161, s5
	v_cndmask_b32_e64 v75, -v166, v166, s5
	ds_bpermute_b32 v111, v37, v73
	s_waitcnt lgkmcnt(9)
	v_add_f32_e32 v166, v70, v84
	s_waitcnt lgkmcnt(8)
	v_add_f32_e32 v70, v72, v102
	;; [unrolled: 2-line block ×3, first 2 shown]
	ds_bpermute_b32 v102, v37, v78
	ds_bpermute_b32 v106, v37, v173
	ds_bpermute_b32 v115, v37, v77
	s_waitcnt lgkmcnt(9)
	v_add_f32_e32 v167, v71, v93
	s_waitcnt lgkmcnt(8)
	v_add_f32_e32 v71, v75, v103
	v_cndmask_b32_e64 v75, -v165, v165, s5
	ds_bpermute_b32 v114, v37, v76
	v_cndmask_b32_e64 v74, -v74, v74, s5
	v_cndmask_b32_e64 v84, -v168, v168, s5
	;; [unrolled: 1-line block ×3, first 2 shown]
	ds_bpermute_b32 v103, v37, v169
	s_waitcnt lgkmcnt(9)
	v_add_f32_e32 v171, v75, v99
	ds_bpermute_b32 v99, v37, v81
	v_cndmask_b32_e64 v95, -v73, v73, s5
	s_waitcnt lgkmcnt(9)
	v_add_f32_e32 v170, v74, v98
	s_waitcnt lgkmcnt(8)
	v_add_f32_e32 v73, v84, v107
	;; [unrolled: 2-line block ×3, first 2 shown]
	v_cndmask_b32_e64 v78, -v78, v78, s5
	v_cndmask_b32_e64 v93, -v173, v173, s5
	v_cndmask_b32_e64 v98, -v77, v77, s5
	ds_bpermute_b32 v107, v37, v87
	ds_bpermute_b32 v110, v37, v79
	ds_bpermute_b32 v118, v37, v172
	s_waitcnt lgkmcnt(9)
	v_add_f32_e32 v75, v95, v111
	v_cndmask_b32_e64 v95, -v76, v76, s5
	s_waitcnt lgkmcnt(8)
	v_add_f32_e32 v174, v78, v102
	s_waitcnt lgkmcnt(7)
	v_add_f32_e32 v76, v93, v106
	s_waitcnt lgkmcnt(6)
	v_add_f32_e32 v78, v98, v115
	ds_bpermute_b32 v93, v37, v137
	ds_bpermute_b32 v98, v37, v82
	v_cndmask_b32_e64 v84, -v169, v169, s5
	s_waitcnt lgkmcnt(7)
	v_add_f32_e32 v77, v95, v114
	v_cndmask_b32_e64 v81, -v81, v81, s5
	ds_bpermute_b32 v95, v37, v34
	ds_bpermute_b32 v102, v37, v83
	s_waitcnt lgkmcnt(8)
	v_add_f32_e32 v175, v84, v103
	v_cndmask_b32_e64 v84, -v87, v87, s5
	v_cndmask_b32_e64 v79, -v79, v79, s5
	;; [unrolled: 1-line block ×3, first 2 shown]
	s_waitcnt lgkmcnt(7)
	v_add_f32_e32 v178, v81, v99
	ds_bpermute_b32 v99, v37, v85
	ds_bpermute_b32 v103, v37, v94
	s_waitcnt lgkmcnt(8)
	v_add_f32_e32 v179, v84, v107
	s_waitcnt lgkmcnt(7)
	v_add_f32_e32 v79, v79, v110
	;; [unrolled: 2-line block ×3, first 2 shown]
	v_cndmask_b32_e64 v84, -v137, v137, s5
	v_cndmask_b32_e64 v82, -v82, v82, s5
	;; [unrolled: 1-line block ×3, first 2 shown]
	ds_bpermute_b32 v94, v37, v31
	ds_bpermute_b32 v110, v37, v17
	v_cndmask_b32_e64 v34, -v34, v34, s5
	v_cndmask_b32_e64 v83, -v83, v83, s5
	ds_bpermute_b32 v106, v37, v86
	s_waitcnt lgkmcnt(8)
	v_add_f32_e32 v182, v84, v93
	s_waitcnt lgkmcnt(7)
	v_add_f32_e32 v82, v82, v98
	ds_bpermute_b32 v93, v37, v32
	ds_bpermute_b32 v98, v37, v177
	s_waitcnt lgkmcnt(8)
	v_add_f32_e32 v183, v34, v95
	s_waitcnt lgkmcnt(7)
	v_add_f32_e32 v83, v83, v102
	v_cndmask_b32_e64 v34, -v85, v85, s5
	ds_bpermute_b32 v95, v37, v88
	ds_bpermute_b32 v102, v37, v13
	v_cndmask_b32_e64 v31, -v31, v31, s5
	v_cndmask_b32_e64 v17, -v17, v17, s5
	s_waitcnt lgkmcnt(8)
	v_add_f32_e32 v187, v34, v99
	ds_bpermute_b32 v34, v37, v33
	ds_bpermute_b32 v99, v37, v15
	s_waitcnt lgkmcnt(9)
	v_add_f32_e32 v84, v87, v103
	v_cndmask_b32_e64 v85, -v86, v86, s5
	ds_bpermute_b32 v103, v37, v30
	s_waitcnt lgkmcnt(9)
	v_add_f32_e32 v186, v31, v94
	s_waitcnt lgkmcnt(8)
	v_add_f32_e32 v87, v17, v110
	v_cndmask_b32_e64 v17, -v32, v32, s5
	v_cndmask_b32_e64 v31, -v88, v88, s5
	;; [unrolled: 1-line block ×3, first 2 shown]
	ds_bpermute_b32 v88, v37, v92
	ds_bpermute_b32 v94, v37, v12
	s_waitcnt lgkmcnt(9)
	v_add_f32_e32 v85, v85, v106
	v_cndmask_b32_e64 v13, -v13, v13, s5
	v_cndmask_b32_e64 v106, -v30, v30, s5
	s_waitcnt lgkmcnt(8)
	v_add_f32_e32 v190, v17, v93
	s_waitcnt lgkmcnt(7)
	v_add_f32_e32 v30, v32, v98
	v_cndmask_b32_e64 v17, -v92, v92, s5
	ds_bpermute_b32 v92, v37, v35
	ds_bpermute_b32 v98, v37, v11
	s_waitcnt lgkmcnt(8)
	v_add_f32_e32 v191, v31, v95
	s_waitcnt lgkmcnt(7)
	v_add_f32_e32 v31, v13, v102
	v_cndmask_b32_e64 v13, -v33, v33, s5
	ds_bpermute_b32 v93, v37, v91
	ds_bpermute_b32 v95, v37, v8
	v_cndmask_b32_e64 v15, -v15, v15, s5
	ds_bpermute_b32 v102, v37, v16
	v_cndmask_b32_e64 v12, -v12, v12, s5
	s_waitcnt lgkmcnt(9)
	v_add_f32_e32 v194, v13, v34
	s_waitcnt lgkmcnt(7)
	v_add_f32_e32 v32, v106, v103
	v_add_f32_e32 v34, v15, v99
	ds_bpermute_b32 v15, v37, v90
	s_waitcnt lgkmcnt(7)
	v_add_f32_e32 v195, v17, v88
	s_waitcnt lgkmcnt(6)
	v_add_f32_e32 v33, v12, v94
	v_cndmask_b32_e64 v12, -v35, v35, s5
	ds_bpermute_b32 v17, v37, v6
	ds_bpermute_b32 v94, v37, v10
	;; [unrolled: 1-line block ×4, first 2 shown]
	v_cndmask_b32_e64 v11, -v11, v11, s5
	v_cndmask_b32_e64 v13, -v91, v91, s5
	;; [unrolled: 1-line block ×3, first 2 shown]
	s_waitcnt lgkmcnt(9)
	v_add_f32_e32 v198, v12, v92
	v_cndmask_b32_e64 v12, -v16, v16, s5
	s_waitcnt lgkmcnt(8)
	v_add_f32_e32 v35, v11, v98
	ds_bpermute_b32 v11, v37, v4
	s_waitcnt lgkmcnt(8)
	v_add_f32_e32 v91, v13, v93
	s_waitcnt lgkmcnt(7)
	v_add_f32_e32 v92, v8, v95
	;; [unrolled: 2-line block ×3, first 2 shown]
	v_cndmask_b32_e64 v12, -v90, v90, s5
	ds_bpermute_b32 v13, v37, v5
	v_cndmask_b32_e64 v6, -v6, v6, s5
	v_cndmask_b32_e64 v10, -v10, v10, s5
	;; [unrolled: 1-line block ×4, first 2 shown]
	s_waitcnt lgkmcnt(6)
	v_add_f32_e32 v88, v12, v15
	v_xor_b32_e32 v15, 2, v1
	s_waitcnt lgkmcnt(5)
	v_add_f32_e32 v89, v6, v17
	s_waitcnt lgkmcnt(4)
	v_add_f32_e32 v90, v10, v94
	;; [unrolled: 2-line block ×4, first 2 shown]
	v_cndmask_b32_e64 v4, -v4, v4, s5
	ds_bpermute_b32 v14, v37, v38
	ds_bpermute_b32 v16, v37, v2
	v_cmp_gt_i32_e64 s4, 32, v15
	v_cndmask_b32_e64 v17, -v5, v5, s5
	s_waitcnt lgkmcnt(3)
	v_add_f32_e32 v5, v4, v11
	ds_bpermute_b32 v12, v37, v9
	ds_bpermute_b32 v98, v37, v3
	v_cndmask_b32_e64 v11, v1, v15, s4
	s_waitcnt lgkmcnt(4)
	v_add_f32_e32 v4, v17, v13
	v_cndmask_b32_e64 v13, -v38, v38, s5
	v_cndmask_b32_e64 v2, -v2, v2, s5
	ds_bpermute_b32 v15, v37, v18
	v_lshlrev_b32_e32 v38, 2, v11
	ds_bpermute_b32 v11, v37, v7
	v_and_b32_e32 v17, 2, v0
	v_cndmask_b32_e64 v9, -v9, v9, s5
	v_cndmask_b32_e64 v3, -v3, v3, s5
	ds_bpermute_b32 v99, v38, v19
	ds_bpermute_b32 v102, v38, v96
	;; [unrolled: 1-line block ×3, first 2 shown]
	s_waitcnt lgkmcnt(8)
	v_add_f32_e32 v94, v13, v14
	s_waitcnt lgkmcnt(7)
	v_add_f32_e32 v95, v2, v16
	v_cmp_eq_u32_e64 s18, 0, v17
	v_cndmask_b32_e64 v2, -v7, v7, s5
	v_cndmask_b32_e64 v7, -v18, v18, s5
	ds_bpermute_b32 v14, v38, v20
	ds_bpermute_b32 v17, v38, v22
	;; [unrolled: 1-line block ×3, first 2 shown]
	s_waitcnt lgkmcnt(9)
	v_add_f32_e32 v93, v9, v12
	v_cndmask_b32_e64 v9, -v19, v19, s18
	v_cndmask_b32_e64 v12, -v96, v96, s18
	ds_bpermute_b32 v16, v38, v21
	ds_bpermute_b32 v19, v38, v101
	;; [unrolled: 1-line block ×3, first 2 shown]
	s_waitcnt lgkmcnt(11)
	v_add_f32_e32 v3, v3, v98
	v_cndmask_b32_e64 v13, -v97, v97, s18
	s_waitcnt lgkmcnt(9)
	v_add_f32_e32 v96, v2, v11
	v_add_f32_e32 v97, v7, v15
	s_waitcnt lgkmcnt(8)
	v_add_f32_e32 v98, v9, v99
	s_waitcnt lgkmcnt(7)
	v_add_f32_e32 v99, v12, v102
	v_cndmask_b32_e64 v2, -v20, v20, s18
	v_cndmask_b32_e64 v9, -v21, v21, s18
	v_cndmask_b32_e64 v11, -v22, v22, s18
	v_cndmask_b32_e64 v12, -v100, v100, s18
	ds_bpermute_b32 v15, v38, v23
	ds_bpermute_b32 v20, v38, v24
	;; [unrolled: 1-line block ×4, first 2 shown]
	s_waitcnt lgkmcnt(10)
	v_add_f32_e32 v7, v13, v103
	ds_bpermute_b32 v110, v38, v105
	s_waitcnt lgkmcnt(10)
	v_add_f32_e32 v100, v2, v14
	s_waitcnt lgkmcnt(9)
	v_add_f32_e32 v102, v11, v17
	;; [unrolled: 2-line block ×3, first 2 shown]
	v_cndmask_b32_e64 v2, -v23, v23, s18
	ds_bpermute_b32 v17, v38, v27
	ds_bpermute_b32 v18, v38, v28
	;; [unrolled: 1-line block ×3, first 2 shown]
	v_cndmask_b32_e64 v13, -v101, v101, s18
	ds_bpermute_b32 v111, v37, v80
	v_cndmask_b32_e64 v86, -v176, v176, s5
	s_waitcnt lgkmcnt(11)
	v_add_f32_e32 v101, v9, v16
	v_cndmask_b32_e64 v11, -v24, v24, s18
	s_waitcnt lgkmcnt(10)
	v_add_f32_e32 v9, v13, v19
	v_cndmask_b32_e64 v12, -v25, v25, s18
	v_cndmask_b32_e64 v13, -v104, v104, s18
	ds_bpermute_b32 v16, v38, v26
	ds_bpermute_b32 v19, v38, v108
	;; [unrolled: 1-line block ×3, first 2 shown]
	s_waitcnt lgkmcnt(12)
	v_add_f32_e32 v86, v86, v107
	v_cndmask_b32_e64 v14, -v105, v105, s18
	s_waitcnt lgkmcnt(11)
	v_add_f32_e32 v104, v2, v15
	s_waitcnt lgkmcnt(10)
	v_add_f32_e32 v105, v11, v20
	;; [unrolled: 2-line block ×4, first 2 shown]
	v_cndmask_b32_e64 v12, -v27, v27, s18
	v_cndmask_b32_e64 v13, -v28, v28, s18
	;; [unrolled: 1-line block ×3, first 2 shown]
	ds_bpermute_b32 v20, v38, v29
	ds_bpermute_b32 v21, v38, v36
	;; [unrolled: 1-line block ×4, first 2 shown]
	s_waitcnt lgkmcnt(11)
	v_add_f32_e32 v11, v14, v110
	v_cndmask_b32_e64 v2, -v26, v26, s18
	s_waitcnt lgkmcnt(10)
	v_add_f32_e32 v109, v12, v17
	s_waitcnt lgkmcnt(9)
	v_add_f32_e32 v110, v13, v18
	;; [unrolled: 2-line block ×3, first 2 shown]
	ds_bpermute_b32 v18, v38, v41
	ds_bpermute_b32 v23, v38, v116
	;; [unrolled: 1-line block ×3, first 2 shown]
	v_cndmask_b32_e64 v80, -v80, v80, s5
	v_cndmask_b32_e64 v14, -v108, v108, s18
	;; [unrolled: 1-line block ×3, first 2 shown]
	s_waitcnt lgkmcnt(9)
	v_add_f32_e32 v108, v2, v16
	v_cndmask_b32_e64 v2, -v29, v29, s18
	v_add_f32_e32 v80, v80, v111
	s_waitcnt lgkmcnt(8)
	v_add_f32_e32 v111, v14, v19
	v_cndmask_b32_e64 v13, -v36, v36, s18
	v_cndmask_b32_e64 v14, -v39, v39, s18
	;; [unrolled: 1-line block ×3, first 2 shown]
	ds_bpermute_b32 v17, v38, v40
	ds_bpermute_b32 v19, v38, v42
	s_waitcnt lgkmcnt(9)
	v_add_f32_e32 v115, v15, v24
	ds_bpermute_b32 v24, v38, v45
	s_waitcnt lgkmcnt(9)
	v_add_f32_e32 v112, v2, v20
	s_waitcnt lgkmcnt(8)
	v_add_f32_e32 v113, v13, v21
	;; [unrolled: 2-line block ×4, first 2 shown]
	v_cndmask_b32_e64 v14, -v41, v41, s18
	v_cndmask_b32_e64 v16, -v116, v116, s18
	v_cndmask_b32_e64 v20, -v117, v117, s18
	ds_bpermute_b32 v22, v38, v44
	ds_bpermute_b32 v25, v38, v120
	;; [unrolled: 1-line block ×4, first 2 shown]
	s_waitcnt lgkmcnt(9)
	v_add_f32_e32 v117, v14, v18
	s_waitcnt lgkmcnt(8)
	v_add_f32_e32 v119, v16, v23
	;; [unrolled: 2-line block ×3, first 2 shown]
	ds_bpermute_b32 v23, v38, v48
	ds_bpermute_b32 v26, v38, v124
	v_cndmask_b32_e64 v2, -v40, v40, s18
	v_cndmask_b32_e64 v15, -v42, v42, s18
	;; [unrolled: 1-line block ×3, first 2 shown]
	ds_bpermute_b32 v20, v38, v47
	ds_bpermute_b32 v28, v38, v125
	s_waitcnt lgkmcnt(10)
	v_add_f32_e32 v116, v2, v17
	s_waitcnt lgkmcnt(9)
	v_add_f32_e32 v118, v15, v19
	v_cndmask_b32_e64 v15, -v44, v44, s18
	v_cndmask_b32_e64 v17, -v120, v120, s18
	;; [unrolled: 1-line block ×3, first 2 shown]
	ds_bpermute_b32 v19, v38, v46
	s_waitcnt lgkmcnt(9)
	v_add_f32_e32 v122, v16, v24
	ds_bpermute_b32 v24, v38, v50
	ds_bpermute_b32 v29, v38, v131
	v_cndmask_b32_e64 v2, -v43, v43, s18
	s_waitcnt lgkmcnt(10)
	v_add_f32_e32 v121, v15, v22
	s_waitcnt lgkmcnt(9)
	v_add_f32_e32 v123, v17, v25
	;; [unrolled: 2-line block ×3, first 2 shown]
	v_cndmask_b32_e64 v17, -v48, v48, s18
	v_cndmask_b32_e64 v18, -v124, v124, s18
	ds_bpermute_b32 v22, v38, v49
	ds_bpermute_b32 v25, v38, v51
	ds_bpermute_b32 v27, v38, v129
	s_waitcnt lgkmcnt(10)
	v_add_f32_e32 v120, v2, v21
	v_cndmask_b32_e64 v16, -v47, v47, s18
	v_cndmask_b32_e64 v21, -v125, v125, s18
	s_waitcnt lgkmcnt(9)
	v_add_f32_e32 v126, v17, v23
	s_waitcnt lgkmcnt(8)
	v_add_f32_e32 v127, v18, v26
	ds_bpermute_b32 v23, v38, v53
	ds_bpermute_b32 v26, v38, v54
	;; [unrolled: 1-line block ×3, first 2 shown]
	v_cndmask_b32_e64 v2, -v46, v46, s18
	s_waitcnt lgkmcnt(10)
	v_add_f32_e32 v125, v16, v20
	s_waitcnt lgkmcnt(9)
	v_add_f32_e32 v16, v21, v28
	v_cndmask_b32_e64 v17, -v50, v50, s18
	v_cndmask_b32_e64 v20, -v131, v131, s18
	ds_bpermute_b32 v21, v38, v52
	ds_bpermute_b32 v28, v38, v148
	s_waitcnt lgkmcnt(10)
	v_add_f32_e32 v124, v2, v19
	v_cndmask_b32_e64 v2, -v49, v49, s18
	v_cndmask_b32_e64 v18, -v51, v51, s18
	v_cndmask_b32_e64 v19, -v129, v129, s18
	s_waitcnt lgkmcnt(9)
	v_add_f32_e32 v131, v17, v24
	s_waitcnt lgkmcnt(8)
	v_add_f32_e32 v17, v20, v29
	ds_bpermute_b32 v29, v38, v152
	s_waitcnt lgkmcnt(8)
	v_add_f32_e32 v129, v2, v22
	s_waitcnt lgkmcnt(7)
	v_add_f32_e32 v133, v18, v25
	;; [unrolled: 2-line block ×3, first 2 shown]
	v_cndmask_b32_e64 v18, -v53, v53, s18
	v_cndmask_b32_e64 v19, -v54, v54, s18
	;; [unrolled: 1-line block ×3, first 2 shown]
	ds_bpermute_b32 v24, v38, v55
	ds_bpermute_b32 v25, v38, v56
	;; [unrolled: 1-line block ×4, first 2 shown]
	v_cndmask_b32_e64 v2, -v52, v52, s18
	v_cndmask_b32_e64 v20, -v148, v148, s18
	s_waitcnt lgkmcnt(9)
	v_add_f32_e32 v149, v18, v23
	s_waitcnt lgkmcnt(8)
	v_add_f32_e32 v150, v19, v26
	;; [unrolled: 2-line block ×3, first 2 shown]
	ds_bpermute_b32 v26, v38, v59
	ds_bpermute_b32 v36, v38, v155
	;; [unrolled: 1-line block ×3, first 2 shown]
	s_waitcnt lgkmcnt(9)
	v_add_f32_e32 v148, v2, v21
	s_waitcnt lgkmcnt(8)
	v_add_f32_e32 v151, v20, v28
	v_cndmask_b32_e64 v21, -v152, v152, s18
	ds_bpermute_b32 v28, v38, v60
	v_cndmask_b32_e64 v2, -v55, v55, s18
	v_cndmask_b32_e64 v19, -v56, v56, s18
	;; [unrolled: 1-line block ×4, first 2 shown]
	ds_bpermute_b32 v23, v38, v58
	s_waitcnt lgkmcnt(9)
	v_add_f32_e32 v154, v21, v29
	ds_bpermute_b32 v29, v38, v63
	s_waitcnt lgkmcnt(9)
	v_add_f32_e32 v57, v2, v24
	s_waitcnt lgkmcnt(8)
	v_add_f32_e32 v152, v19, v25
	;; [unrolled: 2-line block ×4, first 2 shown]
	v_cndmask_b32_e64 v20, -v59, v59, s18
	v_cndmask_b32_e64 v22, -v155, v155, s18
	;; [unrolled: 1-line block ×3, first 2 shown]
	ds_bpermute_b32 v27, v38, v62
	ds_bpermute_b32 v39, v38, v158
	;; [unrolled: 1-line block ×3, first 2 shown]
	v_cndmask_b32_e64 v21, -v60, v60, s18
	ds_bpermute_b32 v25, v38, v61
	s_waitcnt lgkmcnt(9)
	v_add_f32_e32 v155, v20, v26
	s_waitcnt lgkmcnt(8)
	v_add_f32_e32 v157, v22, v36
	;; [unrolled: 2-line block ×3, first 2 shown]
	ds_bpermute_b32 v36, v38, v66
	ds_bpermute_b32 v40, v38, v162
	v_cndmask_b32_e64 v2, -v58, v58, s18
	s_waitcnt lgkmcnt(8)
	v_add_f32_e32 v156, v21, v28
	v_cndmask_b32_e64 v22, -v63, v63, s18
	ds_bpermute_b32 v26, v38, v64
	ds_bpermute_b32 v28, v38, v65
	;; [unrolled: 1-line block ×3, first 2 shown]
	s_waitcnt lgkmcnt(10)
	v_add_f32_e32 v58, v2, v23
	v_cndmask_b32_e64 v21, -v62, v62, s18
	v_cndmask_b32_e64 v23, -v158, v158, s18
	;; [unrolled: 1-line block ×3, first 2 shown]
	s_waitcnt lgkmcnt(9)
	v_add_f32_e32 v160, v22, v29
	ds_bpermute_b32 v29, v38, v68
	ds_bpermute_b32 v43, v38, v167
	v_cndmask_b32_e64 v2, -v61, v61, s18
	s_waitcnt lgkmcnt(10)
	v_add_f32_e32 v159, v21, v27
	s_waitcnt lgkmcnt(9)
	v_add_f32_e32 v161, v23, v39
	;; [unrolled: 2-line block ×3, first 2 shown]
	v_cndmask_b32_e64 v23, -v66, v66, s18
	v_cndmask_b32_e64 v24, -v162, v162, s18
	ds_bpermute_b32 v27, v38, v67
	ds_bpermute_b32 v39, v38, v69
	;; [unrolled: 1-line block ×3, first 2 shown]
	s_waitcnt lgkmcnt(10)
	v_add_f32_e32 v158, v2, v25
	v_cndmask_b32_e64 v2, -v64, v64, s18
	v_cndmask_b32_e64 v22, -v65, v65, s18
	v_cndmask_b32_e64 v25, -v163, v163, s18
	s_waitcnt lgkmcnt(9)
	v_add_f32_e32 v164, v23, v36
	s_waitcnt lgkmcnt(8)
	v_add_f32_e32 v165, v24, v40
	ds_bpermute_b32 v36, v38, v71
	ds_bpermute_b32 v40, v38, v72
	;; [unrolled: 1-line block ×3, first 2 shown]
	s_waitcnt lgkmcnt(10)
	v_add_f32_e32 v162, v2, v26
	s_waitcnt lgkmcnt(9)
	v_add_f32_e32 v163, v22, v28
	;; [unrolled: 2-line block ×3, first 2 shown]
	v_cndmask_b32_e64 v23, -v68, v68, s18
	v_cndmask_b32_e64 v26, -v167, v167, s18
	ds_bpermute_b32 v42, v38, v170
	v_cndmask_b32_e64 v2, -v67, v67, s18
	v_cndmask_b32_e64 v24, -v69, v69, s18
	;; [unrolled: 1-line block ×3, first 2 shown]
	ds_bpermute_b32 v28, v38, v70
	s_waitcnt lgkmcnt(9)
	v_add_f32_e32 v167, v23, v29
	s_waitcnt lgkmcnt(8)
	v_add_f32_e32 v23, v26, v43
	ds_bpermute_b32 v43, v38, v174
	s_waitcnt lgkmcnt(8)
	v_add_f32_e32 v166, v2, v27
	s_waitcnt lgkmcnt(7)
	v_add_f32_e32 v168, v24, v39
	;; [unrolled: 2-line block ×3, first 2 shown]
	v_cndmask_b32_e64 v24, -v71, v71, s18
	v_cndmask_b32_e64 v25, -v72, v72, s18
	;; [unrolled: 1-line block ×3, first 2 shown]
	ds_bpermute_b32 v29, v38, v73
	ds_bpermute_b32 v39, v38, v74
	;; [unrolled: 1-line block ×4, first 2 shown]
	v_cndmask_b32_e64 v26, -v170, v170, s18
	s_waitcnt lgkmcnt(9)
	v_add_f32_e32 v171, v24, v36
	s_waitcnt lgkmcnt(8)
	v_add_f32_e32 v172, v25, v40
	;; [unrolled: 2-line block ×3, first 2 shown]
	ds_bpermute_b32 v40, v38, v77
	ds_bpermute_b32 v44, v38, v178
	;; [unrolled: 1-line block ×3, first 2 shown]
	v_cndmask_b32_e64 v2, -v70, v70, s18
	s_waitcnt lgkmcnt(9)
	v_add_f32_e32 v173, v26, v42
	v_cndmask_b32_e64 v27, -v174, v174, s18
	ds_bpermute_b32 v42, v38, v78
	v_cndmask_b32_e64 v25, -v74, v74, s18
	s_waitcnt lgkmcnt(9)
	v_add_f32_e32 v170, v2, v28
	v_cndmask_b32_e64 v2, -v73, v73, s18
	v_cndmask_b32_e64 v26, -v75, v75, s18
	;; [unrolled: 1-line block ×3, first 2 shown]
	ds_bpermute_b32 v36, v38, v76
	s_waitcnt lgkmcnt(9)
	v_add_f32_e32 v177, v27, v43
	ds_bpermute_b32 v43, v38, v81
	s_waitcnt lgkmcnt(9)
	v_add_f32_e32 v174, v2, v29
	s_waitcnt lgkmcnt(8)
	v_add_f32_e32 v175, v25, v39
	;; [unrolled: 2-line block ×4, first 2 shown]
	v_cndmask_b32_e64 v26, -v77, v77, s18
	v_cndmask_b32_e64 v28, -v178, v178, s18
	;; [unrolled: 1-line block ×3, first 2 shown]
	ds_bpermute_b32 v41, v38, v80
	ds_bpermute_b32 v45, v38, v182
	;; [unrolled: 1-line block ×3, first 2 shown]
	v_cndmask_b32_e64 v27, -v78, v78, s18
	ds_bpermute_b32 v39, v38, v79
	s_waitcnt lgkmcnt(9)
	v_add_f32_e32 v179, v26, v40
	s_waitcnt lgkmcnt(8)
	v_add_f32_e32 v181, v28, v44
	;; [unrolled: 2-line block ×3, first 2 shown]
	ds_bpermute_b32 v44, v38, v84
	ds_bpermute_b32 v46, v38, v186
	v_cndmask_b32_e64 v2, -v76, v76, s18
	s_waitcnt lgkmcnt(8)
	v_add_f32_e32 v180, v27, v42
	v_cndmask_b32_e64 v28, -v81, v81, s18
	ds_bpermute_b32 v40, v38, v82
	ds_bpermute_b32 v42, v38, v83
	s_waitcnt lgkmcnt(9)
	v_add_f32_e32 v178, v2, v36
	v_cndmask_b32_e64 v27, -v80, v80, s18
	v_cndmask_b32_e64 v29, -v182, v182, s18
	;; [unrolled: 1-line block ×3, first 2 shown]
	ds_bpermute_b32 v48, v38, v187
	s_waitcnt lgkmcnt(9)
	v_add_f32_e32 v184, v28, v43
	ds_bpermute_b32 v43, v38, v86
	ds_bpermute_b32 v49, v38, v191
	v_cndmask_b32_e64 v2, -v79, v79, s18
	s_waitcnt lgkmcnt(10)
	v_add_f32_e32 v183, v27, v41
	s_waitcnt lgkmcnt(9)
	v_add_f32_e32 v185, v29, v45
	;; [unrolled: 2-line block ×3, first 2 shown]
	v_cndmask_b32_e64 v29, -v84, v84, s18
	v_cndmask_b32_e64 v36, -v186, v186, s18
	ds_bpermute_b32 v41, v38, v85
	ds_bpermute_b32 v45, v38, v87
	;; [unrolled: 1-line block ×3, first 2 shown]
	s_waitcnt lgkmcnt(10)
	v_add_f32_e32 v182, v2, v39
	v_cndmask_b32_e64 v2, -v82, v82, s18
	v_cndmask_b32_e64 v28, -v83, v83, s18
	s_waitcnt lgkmcnt(9)
	v_add_f32_e32 v188, v29, v44
	s_waitcnt lgkmcnt(8)
	v_add_f32_e32 v189, v36, v46
	ds_bpermute_b32 v44, v38, v31
	ds_bpermute_b32 v46, v38, v32
	;; [unrolled: 1-line block ×3, first 2 shown]
	v_cndmask_b32_e64 v39, -v187, v187, s18
	s_waitcnt lgkmcnt(10)
	v_add_f32_e32 v186, v2, v40
	s_waitcnt lgkmcnt(9)
	v_add_f32_e32 v187, v28, v42
	v_cndmask_b32_e64 v29, -v86, v86, s18
	v_cndmask_b32_e64 v40, -v191, v191, s18
	ds_bpermute_b32 v42, v38, v30
	s_waitcnt lgkmcnt(9)
	v_add_f32_e32 v28, v39, v48
	v_cndmask_b32_e64 v2, -v85, v85, s18
	v_cndmask_b32_e64 v36, -v87, v87, s18
	;; [unrolled: 1-line block ×3, first 2 shown]
	s_waitcnt lgkmcnt(8)
	v_add_f32_e32 v191, v29, v43
	s_waitcnt lgkmcnt(7)
	v_add_f32_e32 v29, v40, v49
	ds_bpermute_b32 v40, v38, v34
	ds_bpermute_b32 v48, v38, v194
	s_waitcnt lgkmcnt(8)
	v_add_f32_e32 v190, v2, v41
	s_waitcnt lgkmcnt(7)
	v_add_f32_e32 v192, v36, v45
	;; [unrolled: 2-line block ×3, first 2 shown]
	v_cndmask_b32_e64 v2, -v30, v30, s18
	v_cndmask_b32_e64 v30, -v31, v31, s18
	v_cndmask_b32_e64 v31, -v32, v32, s18
	v_cndmask_b32_e64 v36, -v195, v195, s18
	ds_bpermute_b32 v39, v38, v33
	ds_bpermute_b32 v41, v38, v198
	;; [unrolled: 1-line block ×4, first 2 shown]
	s_waitcnt lgkmcnt(9)
	v_add_f32_e32 v195, v30, v44
	s_waitcnt lgkmcnt(8)
	v_add_f32_e32 v196, v31, v46
	;; [unrolled: 2-line block ×3, first 2 shown]
	v_cndmask_b32_e64 v31, -v34, v34, s18
	ds_bpermute_b32 v34, v38, v35
	ds_bpermute_b32 v36, v38, v8
	v_cndmask_b32_e64 v32, -v194, v194, s18
	s_waitcnt lgkmcnt(8)
	v_add_f32_e32 v194, v2, v42
	ds_bpermute_b32 v42, v38, v88
	ds_bpermute_b32 v44, v38, v89
	v_cndmask_b32_e64 v2, -v33, v33, s18
	s_waitcnt lgkmcnt(9)
	v_add_f32_e32 v202, v31, v40
	ds_bpermute_b32 v40, v38, v6
	s_waitcnt lgkmcnt(9)
	v_add_f32_e32 v197, v32, v48
	v_cndmask_b32_e64 v32, -v198, v198, s18
	v_cndmask_b32_e64 v33, -v91, v91, s18
	;; [unrolled: 1-line block ×3, first 2 shown]
	s_waitcnt lgkmcnt(8)
	v_add_f32_e32 v201, v2, v39
	v_cndmask_b32_e64 v2, -v35, v35, s18
	v_cndmask_b32_e64 v8, -v8, v8, s18
	ds_bpermute_b32 v46, v38, v90
	s_waitcnt lgkmcnt(8)
	v_add_f32_e32 v203, v32, v41
	s_waitcnt lgkmcnt(7)
	v_add_f32_e32 v33, v33, v43
	;; [unrolled: 2-line block ×3, first 2 shown]
	ds_bpermute_b32 v41, v38, v10
	ds_bpermute_b32 v43, v38, v5
	v_cndmask_b32_e64 v32, -v88, v88, s18
	v_cndmask_b32_e64 v45, -v89, v89, s18
	s_waitcnt lgkmcnt(7)
	v_add_f32_e32 v39, v2, v34
	s_waitcnt lgkmcnt(6)
	v_add_f32_e32 v34, v8, v36
	v_xor_b32_e32 v36, 4, v1
	s_waitcnt lgkmcnt(5)
	v_add_f32_e32 v35, v32, v42
	s_waitcnt lgkmcnt(4)
	v_add_f32_e32 v32, v45, v44
	v_cndmask_b32_e64 v6, -v6, v6, s18
	v_cndmask_b32_e64 v8, -v10, v10, s18
	ds_bpermute_b32 v10, v38, v4
	ds_bpermute_b32 v44, v38, v94
	ds_bpermute_b32 v45, v38, v95
	v_cmp_gt_i32_e64 s4, 32, v36
	s_waitcnt lgkmcnt(6)
	v_add_f32_e32 v204, v6, v40
	v_cndmask_b32_e64 v47, -v90, v90, s18
	v_cndmask_b32_e64 v5, -v5, v5, s18
	ds_bpermute_b32 v42, v38, v93
	v_cndmask_b32_e64 v6, v1, v36, s4
	s_waitcnt lgkmcnt(5)
	v_add_f32_e32 v205, v8, v41
	v_add_f32_e32 v2, v47, v46
	s_waitcnt lgkmcnt(4)
	v_add_f32_e32 v5, v5, v43
	v_cndmask_b32_e64 v4, -v4, v4, s18
	v_lshlrev_b32_e32 v48, 2, v6
	v_cndmask_b32_e64 v41, -v94, v94, s18
	v_cndmask_b32_e64 v43, -v95, v95, s18
	ds_bpermute_b32 v6, v38, v3
	ds_bpermute_b32 v47, v38, v97
	;; [unrolled: 1-line block ×4, first 2 shown]
	v_and_b32_e32 v49, 4, v0
	s_waitcnt lgkmcnt(7)
	v_add_f32_e32 v36, v4, v10
	s_waitcnt lgkmcnt(6)
	v_add_f32_e32 v41, v41, v44
	;; [unrolled: 2-line block ×3, first 2 shown]
	ds_bpermute_b32 v44, v48, v7
	ds_bpermute_b32 v45, v48, v100
	;; [unrolled: 1-line block ×3, first 2 shown]
	v_cndmask_b32_e64 v8, -v93, v93, s18
	ds_bpermute_b32 v46, v38, v96
	v_cmp_eq_u32_e64 s4, 0, v49
	v_cndmask_b32_e64 v3, -v3, v3, s18
	v_cndmask_b32_e64 v10, -v97, v97, s18
	s_waitcnt lgkmcnt(8)
	v_add_f32_e32 v40, v8, v42
	ds_bpermute_b32 v49, v48, v101
	v_cndmask_b32_e64 v42, -v98, v98, s4
	v_cndmask_b32_e64 v43, -v99, v99, s4
	ds_bpermute_b32 v52, v48, v102
	s_waitcnt lgkmcnt(9)
	v_add_f32_e32 v198, v3, v6
	s_waitcnt lgkmcnt(8)
	v_add_f32_e32 v200, v10, v47
	;; [unrolled: 2-line block ×4, first 2 shown]
	v_cndmask_b32_e64 v3, -v7, v7, s4
	v_cndmask_b32_e64 v7, -v100, v100, s4
	v_cndmask_b32_e64 v47, -v103, v103, s4
	ds_bpermute_b32 v50, v48, v9
	ds_bpermute_b32 v51, v48, v104
	;; [unrolled: 1-line block ×5, first 2 shown]
	v_cndmask_b32_e64 v8, -v96, v96, s18
	s_waitcnt lgkmcnt(10)
	v_add_f32_e32 v43, v3, v44
	s_waitcnt lgkmcnt(9)
	v_add_f32_e32 v44, v7, v45
	s_waitcnt lgkmcnt(8)
	v_add_f32_e32 v7, v47, v53
	ds_bpermute_b32 v53, v48, v11
	ds_bpermute_b32 v59, v48, v108
	;; [unrolled: 1-line block ×5, first 2 shown]
	s_waitcnt lgkmcnt(12)
	v_add_f32_e32 v199, v8, v46
	v_cndmask_b32_e64 v8, -v101, v101, s4
	v_cndmask_b32_e64 v10, -v102, v102, s4
	ds_bpermute_b32 v63, v48, v12
	ds_bpermute_b32 v64, v48, v112
	;; [unrolled: 1-line block ×5, first 2 shown]
	s_waitcnt lgkmcnt(16)
	v_add_f32_e32 v45, v8, v49
	s_waitcnt lgkmcnt(15)
	v_add_f32_e32 v46, v10, v52
	v_cndmask_b32_e64 v3, -v9, v9, s4
	v_cndmask_b32_e64 v8, -v104, v104, s4
	;; [unrolled: 1-line block ×5, first 2 shown]
	ds_bpermute_b32 v69, v48, v116
	ds_bpermute_b32 v71, v48, v118
	;; [unrolled: 1-line block ×3, first 2 shown]
	s_waitcnt lgkmcnt(17)
	v_add_f32_e32 v47, v3, v50
	s_waitcnt lgkmcnt(16)
	v_add_f32_e32 v49, v8, v51
	s_waitcnt lgkmcnt(15)
	v_add_f32_e32 v50, v9, v54
	s_waitcnt lgkmcnt(14)
	v_add_f32_e32 v51, v10, v55
	s_waitcnt lgkmcnt(13)
	v_add_f32_e32 v8, v52, v56
	v_cndmask_b32_e64 v3, -v11, v11, s4
	v_cndmask_b32_e64 v9, -v108, v108, s4
	;; [unrolled: 1-line block ×5, first 2 shown]
	s_waitcnt lgkmcnt(12)
	v_add_f32_e32 v52, v3, v53
	s_waitcnt lgkmcnt(11)
	v_add_f32_e32 v53, v9, v59
	;; [unrolled: 2-line block ×5, first 2 shown]
	v_cndmask_b32_e64 v3, -v12, v12, s4
	v_cndmask_b32_e64 v10, -v112, v112, s4
	;; [unrolled: 1-line block ×5, first 2 shown]
	ds_bpermute_b32 v68, v48, v13
	ds_bpermute_b32 v70, v48, v117
	s_waitcnt lgkmcnt(9)
	v_add_f32_e32 v56, v3, v63
	s_waitcnt lgkmcnt(8)
	v_add_f32_e32 v59, v10, v64
	;; [unrolled: 2-line block ×5, first 2 shown]
	v_cndmask_b32_e64 v3, -v13, v13, s4
	v_cndmask_b32_e64 v11, -v116, v116, s4
	;; [unrolled: 1-line block ×4, first 2 shown]
	ds_bpermute_b32 v67, v48, v14
	ds_bpermute_b32 v73, v48, v120
	;; [unrolled: 1-line block ×5, first 2 shown]
	s_waitcnt lgkmcnt(9)
	v_add_f32_e32 v63, v11, v69
	s_waitcnt lgkmcnt(8)
	v_add_f32_e32 v65, v13, v71
	s_waitcnt lgkmcnt(7)
	v_add_f32_e32 v11, v66, v72
	ds_bpermute_b32 v71, v48, v15
	ds_bpermute_b32 v72, v48, v124
	;; [unrolled: 1-line block ×3, first 2 shown]
	v_cndmask_b32_e64 v12, -v117, v117, s4
	s_waitcnt lgkmcnt(9)
	v_add_f32_e32 v62, v3, v68
	v_cndmask_b32_e64 v3, -v14, v14, s4
	v_cndmask_b32_e64 v13, -v121, v121, s4
	;; [unrolled: 1-line block ×3, first 2 shown]
	s_waitcnt lgkmcnt(8)
	v_add_f32_e32 v64, v12, v70
	v_cndmask_b32_e64 v12, -v120, v120, s4
	v_cndmask_b32_e64 v70, -v123, v123, s4
	ds_bpermute_b32 v77, v48, v125
	ds_bpermute_b32 v78, v48, v126
	s_waitcnt lgkmcnt(9)
	v_add_f32_e32 v66, v3, v67
	s_waitcnt lgkmcnt(8)
	v_add_f32_e32 v67, v12, v73
	s_waitcnt lgkmcnt(7)
	v_add_f32_e32 v68, v13, v74
	s_waitcnt lgkmcnt(6)
	v_add_f32_e32 v69, v14, v75
	s_waitcnt lgkmcnt(5)
	v_add_f32_e32 v12, v70, v76
	v_cndmask_b32_e64 v3, -v15, v15, s4
	v_cndmask_b32_e64 v13, -v124, v124, s4
	;; [unrolled: 1-line block ×3, first 2 shown]
	ds_bpermute_b32 v75, v48, v16
	ds_bpermute_b32 v76, v48, v129
	;; [unrolled: 1-line block ×5, first 2 shown]
	s_waitcnt lgkmcnt(9)
	v_add_f32_e32 v70, v3, v71
	s_waitcnt lgkmcnt(8)
	v_add_f32_e32 v71, v13, v72
	;; [unrolled: 2-line block ×3, first 2 shown]
	ds_bpermute_b32 v79, v48, v17
	ds_bpermute_b32 v83, v48, v148
	;; [unrolled: 1-line block ×4, first 2 shown]
	v_cndmask_b32_e64 v14, -v125, v125, s4
	v_cndmask_b32_e64 v15, -v126, v126, s4
	ds_bpermute_b32 v84, v48, v149
	ds_bpermute_b32 v89, v48, v152
	v_cndmask_b32_e64 v3, -v16, v16, s4
	s_waitcnt lgkmcnt(12)
	v_add_f32_e32 v72, v14, v77
	s_waitcnt lgkmcnt(11)
	v_add_f32_e32 v73, v15, v78
	v_cndmask_b32_e64 v14, -v129, v129, s4
	v_cndmask_b32_e64 v15, -v131, v131, s4
	v_cndmask_b32_e64 v78, -v147, v147, s4
	v_cndmask_b32_e64 v16, -v133, v133, s4
	s_waitcnt lgkmcnt(10)
	v_add_f32_e32 v74, v3, v75
	s_waitcnt lgkmcnt(9)
	v_add_f32_e32 v75, v14, v76
	;; [unrolled: 2-line block ×4, first 2 shown]
	v_cndmask_b32_e64 v3, -v17, v17, s4
	v_cndmask_b32_e64 v15, -v148, v148, s4
	;; [unrolled: 1-line block ×4, first 2 shown]
	ds_bpermute_b32 v87, v48, v18
	s_waitcnt lgkmcnt(7)
	v_add_f32_e32 v77, v16, v81
	v_cndmask_b32_e64 v16, -v149, v149, s4
	s_waitcnt lgkmcnt(6)
	v_add_f32_e32 v78, v3, v79
	s_waitcnt lgkmcnt(5)
	v_add_f32_e32 v79, v15, v83
	;; [unrolled: 2-line block ×4, first 2 shown]
	v_cndmask_b32_e64 v17, -v152, v152, s4
	ds_bpermute_b32 v86, v48, v19
	ds_bpermute_b32 v94, v48, v156
	;; [unrolled: 1-line block ×5, first 2 shown]
	s_waitcnt lgkmcnt(7)
	v_add_f32_e32 v80, v16, v84
	ds_bpermute_b32 v92, v48, v58
	s_waitcnt lgkmcnt(7)
	v_add_f32_e32 v84, v17, v89
	v_cndmask_b32_e64 v17, -v58, v58, s4
	ds_bpermute_b32 v58, v48, v20
	v_cndmask_b32_e64 v3, -v18, v18, s4
	ds_bpermute_b32 v95, v48, v157
	v_cndmask_b32_e64 v16, -v57, v57, s4
	v_cndmask_b32_e64 v18, -v153, v153, s4
	;; [unrolled: 1-line block ×3, first 2 shown]
	s_waitcnt lgkmcnt(8)
	v_add_f32_e32 v82, v3, v87
	v_cndmask_b32_e64 v3, -v19, v19, s4
	v_cndmask_b32_e64 v19, -v156, v156, s4
	ds_bpermute_b32 v93, v48, v155
	ds_bpermute_b32 v96, v48, v159
	;; [unrolled: 1-line block ×3, first 2 shown]
	s_waitcnt lgkmcnt(10)
	v_add_f32_e32 v86, v3, v86
	s_waitcnt lgkmcnt(9)
	v_add_f32_e32 v89, v19, v94
	v_cndmask_b32_e64 v3, -v20, v20, s4
	ds_bpermute_b32 v94, v48, v21
	s_waitcnt lgkmcnt(9)
	v_add_f32_e32 v83, v16, v88
	s_waitcnt lgkmcnt(8)
	v_add_f32_e32 v85, v18, v90
	;; [unrolled: 2-line block ×3, first 2 shown]
	v_cndmask_b32_e64 v57, -v157, v157, s4
	ds_bpermute_b32 v91, v48, v158
	ds_bpermute_b32 v98, v48, v161
	s_waitcnt lgkmcnt(7)
	v_add_f32_e32 v90, v3, v58
	ds_bpermute_b32 v58, v48, v22
	v_add_f32_e32 v87, v17, v92
	s_waitcnt lgkmcnt(7)
	v_add_f32_e32 v17, v57, v95
	ds_bpermute_b32 v95, v48, v162
	ds_bpermute_b32 v99, v48, v163
	;; [unrolled: 1-line block ×4, first 2 shown]
	v_cndmask_b32_e64 v18, -v155, v155, s4
	v_cndmask_b32_e64 v3, -v21, v21, s4
	ds_bpermute_b32 v102, v48, v166
	ds_bpermute_b32 v103, v48, v167
	;; [unrolled: 1-line block ×3, first 2 shown]
	s_waitcnt lgkmcnt(13)
	v_add_f32_e32 v88, v18, v93
	v_cndmask_b32_e64 v18, -v158, v158, s4
	v_cndmask_b32_e64 v19, -v159, v159, s4
	v_cndmask_b32_e64 v20, -v160, v160, s4
	v_cndmask_b32_e64 v57, -v161, v161, s4
	s_waitcnt lgkmcnt(10)
	v_add_f32_e32 v94, v3, v94
	v_cndmask_b32_e64 v3, -v22, v22, s4
	ds_bpermute_b32 v106, v48, v23
	ds_bpermute_b32 v107, v48, v170
	;; [unrolled: 1-line block ×3, first 2 shown]
	s_waitcnt lgkmcnt(12)
	v_add_f32_e32 v91, v18, v91
	v_add_f32_e32 v92, v19, v96
	;; [unrolled: 1-line block ×3, first 2 shown]
	s_waitcnt lgkmcnt(11)
	v_add_f32_e32 v18, v57, v98
	v_cndmask_b32_e64 v19, -v162, v162, s4
	v_cndmask_b32_e64 v20, -v163, v163, s4
	;; [unrolled: 1-line block ×4, first 2 shown]
	ds_bpermute_b32 v104, v48, v168
	s_waitcnt lgkmcnt(11)
	v_add_f32_e32 v98, v3, v58
	ds_bpermute_b32 v58, v48, v24
	s_waitcnt lgkmcnt(11)
	v_add_f32_e32 v95, v19, v95
	s_waitcnt lgkmcnt(10)
	v_add_f32_e32 v96, v20, v99
	;; [unrolled: 2-line block ×4, first 2 shown]
	v_cndmask_b32_e64 v20, -v166, v166, s4
	v_cndmask_b32_e64 v21, -v167, v167, s4
	;; [unrolled: 1-line block ×3, first 2 shown]
	ds_bpermute_b32 v108, v48, v171
	ds_bpermute_b32 v109, v48, v172
	s_waitcnt lgkmcnt(9)
	v_add_f32_e32 v99, v20, v102
	s_waitcnt lgkmcnt(8)
	v_add_f32_e32 v100, v21, v103
	;; [unrolled: 2-line block ×3, first 2 shown]
	v_cndmask_b32_e64 v3, -v23, v23, s4
	v_cndmask_b32_e64 v21, -v170, v170, s4
	;; [unrolled: 1-line block ×3, first 2 shown]
	ds_bpermute_b32 v111, v48, v174
	ds_bpermute_b32 v112, v48, v175
	;; [unrolled: 1-line block ×3, first 2 shown]
	v_cndmask_b32_e64 v22, -v168, v168, s4
	s_waitcnt lgkmcnt(9)
	v_add_f32_e32 v102, v3, v106
	s_waitcnt lgkmcnt(8)
	v_add_f32_e32 v103, v21, v107
	;; [unrolled: 2-line block ×3, first 2 shown]
	v_cndmask_b32_e64 v3, -v24, v24, s4
	ds_bpermute_b32 v110, v48, v25
	ds_bpermute_b32 v115, v48, v178
	;; [unrolled: 1-line block ×3, first 2 shown]
	s_waitcnt lgkmcnt(9)
	v_add_f32_e32 v101, v22, v104
	v_cndmask_b32_e64 v22, -v171, v171, s4
	v_cndmask_b32_e64 v23, -v172, v172, s4
	ds_bpermute_b32 v113, v48, v176
	s_waitcnt lgkmcnt(9)
	v_add_f32_e32 v106, v3, v58
	ds_bpermute_b32 v58, v48, v26
	s_waitcnt lgkmcnt(9)
	v_add_f32_e32 v104, v22, v108
	s_waitcnt lgkmcnt(8)
	v_add_f32_e32 v105, v23, v109
	v_cndmask_b32_e64 v22, -v174, v174, s4
	v_cndmask_b32_e64 v23, -v175, v175, s4
	v_cndmask_b32_e64 v57, -v177, v177, s4
	ds_bpermute_b32 v116, v48, v179
	ds_bpermute_b32 v117, v48, v180
	s_waitcnt lgkmcnt(9)
	v_add_f32_e32 v107, v22, v111
	s_waitcnt lgkmcnt(8)
	v_add_f32_e32 v108, v23, v112
	;; [unrolled: 2-line block ×3, first 2 shown]
	v_cndmask_b32_e64 v3, -v25, v25, s4
	v_cndmask_b32_e64 v23, -v178, v178, s4
	;; [unrolled: 1-line block ×3, first 2 shown]
	ds_bpermute_b32 v119, v48, v182
	ds_bpermute_b32 v120, v48, v183
	;; [unrolled: 1-line block ×4, first 2 shown]
	v_cndmask_b32_e64 v24, -v176, v176, s4
	s_waitcnt lgkmcnt(10)
	v_add_f32_e32 v110, v3, v110
	s_waitcnt lgkmcnt(9)
	v_add_f32_e32 v111, v23, v115
	;; [unrolled: 2-line block ×3, first 2 shown]
	v_cndmask_b32_e64 v3, -v26, v26, s4
	ds_bpermute_b32 v118, v48, v27
	ds_bpermute_b32 v123, v48, v186
	;; [unrolled: 1-line block ×4, first 2 shown]
	s_waitcnt lgkmcnt(11)
	v_add_f32_e32 v109, v24, v113
	v_cndmask_b32_e64 v24, -v179, v179, s4
	v_cndmask_b32_e64 v25, -v180, v180, s4
	ds_bpermute_b32 v125, v48, v188
	s_waitcnt lgkmcnt(11)
	v_add_f32_e32 v114, v3, v58
	ds_bpermute_b32 v58, v48, v28
	ds_bpermute_b32 v127, v48, v190
	;; [unrolled: 1-line block ×3, first 2 shown]
	s_waitcnt lgkmcnt(13)
	v_add_f32_e32 v112, v24, v116
	s_waitcnt lgkmcnt(12)
	v_add_f32_e32 v113, v25, v117
	v_cndmask_b32_e64 v24, -v182, v182, s4
	v_cndmask_b32_e64 v25, -v183, v183, s4
	v_cndmask_b32_e64 v26, -v184, v184, s4
	v_cndmask_b32_e64 v57, -v185, v185, s4
	ds_bpermute_b32 v128, v48, v191
	s_waitcnt lgkmcnt(12)
	v_add_f32_e32 v115, v24, v119
	s_waitcnt lgkmcnt(11)
	v_add_f32_e32 v116, v25, v120
	;; [unrolled: 2-line block ×4, first 2 shown]
	v_cndmask_b32_e64 v3, -v27, v27, s4
	v_cndmask_b32_e64 v25, -v186, v186, s4
	;; [unrolled: 1-line block ×4, first 2 shown]
	ds_bpermute_b32 v129, v48, v192
	ds_bpermute_b32 v131, v48, v194
	;; [unrolled: 1-line block ×3, first 2 shown]
	v_cndmask_b32_e64 v27, -v188, v188, s4
	s_waitcnt lgkmcnt(11)
	v_add_f32_e32 v118, v3, v118
	s_waitcnt lgkmcnt(10)
	v_add_f32_e32 v119, v25, v123
	;; [unrolled: 2-line block ×4, first 2 shown]
	v_cndmask_b32_e64 v3, -v28, v28, s4
	v_cndmask_b32_e64 v26, -v190, v190, s4
	v_cndmask_b32_e64 v57, -v193, v193, s4
	ds_bpermute_b32 v126, v48, v29
	ds_bpermute_b32 v132, v48, v195
	;; [unrolled: 1-line block ×3, first 2 shown]
	s_waitcnt lgkmcnt(10)
	v_add_f32_e32 v121, v27, v125
	v_cndmask_b32_e64 v27, -v191, v191, s4
	s_waitcnt lgkmcnt(9)
	v_add_f32_e32 v122, v3, v58
	s_waitcnt lgkmcnt(8)
	v_add_f32_e32 v123, v26, v127
	;; [unrolled: 2-line block ×3, first 2 shown]
	ds_bpermute_b32 v58, v48, v30
	ds_bpermute_b32 v130, v48, v202
	v_cndmask_b32_e64 v28, -v192, v192, s4
	s_waitcnt lgkmcnt(8)
	v_add_f32_e32 v124, v27, v128
	v_cndmask_b32_e64 v27, -v194, v194, s4
	v_cndmask_b32_e64 v57, -v197, v197, s4
	ds_bpermute_b32 v128, v48, v201
	s_waitcnt lgkmcnt(8)
	v_add_f32_e32 v125, v28, v129
	v_cndmask_b32_e64 v3, -v29, v29, s4
	v_cndmask_b32_e64 v28, -v195, v195, s4
	;; [unrolled: 1-line block ×3, first 2 shown]
	ds_bpermute_b32 v135, v48, v203
	ds_bpermute_b32 v136, v48, v33
	s_waitcnt lgkmcnt(9)
	v_add_f32_e32 v127, v27, v131
	s_waitcnt lgkmcnt(8)
	v_add_f32_e32 v27, v57, v134
	ds_bpermute_b32 v134, v48, v34
	s_waitcnt lgkmcnt(8)
	v_add_f32_e32 v126, v3, v126
	s_waitcnt lgkmcnt(7)
	v_add_f32_e32 v129, v28, v132
	;; [unrolled: 2-line block ×3, first 2 shown]
	v_cndmask_b32_e64 v3, -v30, v30, s4
	v_cndmask_b32_e64 v29, -v202, v202, s4
	ds_bpermute_b32 v132, v48, v39
	v_cndmask_b32_e64 v28, -v201, v201, s4
	ds_bpermute_b32 v57, v48, v31
	s_waitcnt lgkmcnt(7)
	v_add_f32_e32 v133, v3, v58
	s_waitcnt lgkmcnt(6)
	v_add_f32_e32 v148, v29, v130
	v_cndmask_b32_e64 v3, -v31, v31, s4
	ds_bpermute_b32 v29, v48, v2
	ds_bpermute_b32 v31, v48, v204
	v_cndmask_b32_e64 v30, -v203, v203, s4
	ds_bpermute_b32 v138, v48, v32
	v_cndmask_b32_e64 v33, -v33, v33, s4
	s_waitcnt lgkmcnt(8)
	v_add_f32_e32 v147, v28, v128
	v_cndmask_b32_e64 v34, -v34, v34, s4
	ds_bpermute_b32 v128, v48, v5
	ds_bpermute_b32 v137, v48, v35
	s_waitcnt lgkmcnt(9)
	v_add_f32_e32 v149, v30, v135
	s_waitcnt lgkmcnt(8)
	v_add_f32_e32 v28, v33, v136
	v_cndmask_b32_e64 v30, -v39, v39, s4
	ds_bpermute_b32 v33, v48, v205
	v_cndmask_b32_e64 v39, -v35, v35, s4
	s_waitcnt lgkmcnt(8)
	v_add_f32_e32 v35, v34, v134
	v_xor_b32_e32 v134, 8, v1
	s_waitcnt lgkmcnt(7)
	v_add_f32_e32 v58, v30, v132
	v_cndmask_b32_e64 v2, -v2, v2, s4
	v_cndmask_b32_e64 v30, -v204, v204, s4
	ds_bpermute_b32 v34, v48, v36
	ds_bpermute_b32 v130, v48, v40
	v_cmp_gt_i32_e64 s19, 32, v134
	v_cndmask_b32_e64 v32, -v32, v32, s4
	s_waitcnt lgkmcnt(7)
	v_add_f32_e32 v182, v2, v29
	v_cndmask_b32_e64 v2, -v5, v5, s4
	s_waitcnt lgkmcnt(6)
	v_add_f32_e32 v183, v30, v31
	v_cndmask_b32_e64 v29, v1, v134, s19
	v_cndmask_b32_e64 v31, -v40, v40, s4
	ds_bpermute_b32 v40, v48, v200
	v_add_f32_e32 v57, v3, v57
	s_waitcnt lgkmcnt(6)
	v_add_f32_e32 v3, v32, v138
	v_cndmask_b32_e64 v32, -v205, v205, s4
	s_waitcnt lgkmcnt(5)
	v_add_f32_e32 v173, v2, v128
	v_lshlrev_b32_e32 v2, 2, v29
	ds_bpermute_b32 v132, v48, v41
	v_cndmask_b32_e64 v30, -v36, v36, s4
	s_waitcnt lgkmcnt(4)
	v_add_f32_e32 v5, v32, v33
	v_cndmask_b32_e64 v32, -v41, v41, s4
	ds_bpermute_b32 v29, v48, v4
	ds_bpermute_b32 v33, v48, v198
	;; [unrolled: 1-line block ×4, first 2 shown]
	s_waitcnt lgkmcnt(7)
	v_add_f32_e32 v179, v30, v34
	s_waitcnt lgkmcnt(6)
	v_add_f32_e32 v180, v31, v130
	v_and_b32_e32 v30, 8, v0
	v_cndmask_b32_e64 v34, -v200, v200, s4
	ds_bpermute_b32 v130, v2, v44
	v_cndmask_b32_e64 v4, -v4, v4, s4
	v_cndmask_b32_e64 v31, -v198, v198, s4
	v_cmp_eq_u32_e64 s19, 0, v30
	s_waitcnt lgkmcnt(6)
	v_add_f32_e32 v152, v34, v40
	ds_bpermute_b32 v34, v2, v47
	ds_bpermute_b32 v128, v2, v43
	;; [unrolled: 1-line block ×3, first 2 shown]
	v_cndmask_b32_e64 v30, -v42, v42, s19
	s_waitcnt lgkmcnt(8)
	v_add_f32_e32 v181, v32, v132
	v_cndmask_b32_e64 v32, -v199, v199, s4
	ds_bpermute_b32 v132, v2, v45
	s_waitcnt lgkmcnt(8)
	v_add_f32_e32 v174, v4, v29
	s_waitcnt lgkmcnt(7)
	v_add_f32_e32 v150, v31, v33
	;; [unrolled: 2-line block ×3, first 2 shown]
	v_cndmask_b32_e64 v30, -v44, v44, s19
	ds_bpermute_b32 v33, v2, v7
	ds_bpermute_b32 v42, v2, v6
	s_waitcnt lgkmcnt(7)
	v_add_f32_e32 v151, v32, v36
	v_cndmask_b32_e64 v29, -v43, v43, s19
	ds_bpermute_b32 v36, v2, v49
	ds_bpermute_b32 v40, v2, v50
	s_waitcnt lgkmcnt(8)
	v_add_f32_e32 v154, v30, v130
	v_cndmask_b32_e64 v30, -v47, v47, s19
	ds_bpermute_b32 v43, v2, v8
	v_cndmask_b32_e64 v31, -v45, v45, s19
	ds_bpermute_b32 v41, v2, v51
	ds_bpermute_b32 v44, v2, v52
	;; [unrolled: 1-line block ×3, first 2 shown]
	s_waitcnt lgkmcnt(11)
	v_add_f32_e32 v157, v30, v34
	ds_bpermute_b32 v34, v2, v9
	v_cndmask_b32_e64 v32, -v46, v46, s19
	v_cndmask_b32_e64 v7, -v7, v7, s19
	;; [unrolled: 1-line block ×3, first 2 shown]
	s_waitcnt lgkmcnt(11)
	v_add_f32_e32 v153, v29, v128
	s_waitcnt lgkmcnt(9)
	v_add_f32_e32 v155, v31, v132
	v_add_f32_e32 v29, v32, v134
	v_cndmask_b32_e64 v31, -v49, v49, s19
	v_cndmask_b32_e64 v32, -v50, v50, s19
	ds_bpermute_b32 v46, v2, v54
	s_waitcnt lgkmcnt(9)
	v_add_f32_e32 v156, v7, v33
	v_cndmask_b32_e64 v7, -v8, v8, s19
	s_waitcnt lgkmcnt(8)
	v_add_f32_e32 v6, v6, v42
	v_cndmask_b32_e64 v42, -v51, v51, s19
	s_waitcnt lgkmcnt(7)
	v_add_f32_e32 v158, v31, v36
	s_waitcnt lgkmcnt(6)
	v_add_f32_e32 v159, v32, v40
	v_cndmask_b32_e64 v8, -v52, v52, s19
	v_cndmask_b32_e64 v31, -v53, v53, s19
	ds_bpermute_b32 v36, v2, v56
	ds_bpermute_b32 v40, v2, v59
	s_waitcnt lgkmcnt(7)
	v_add_f32_e32 v160, v7, v43
	v_cndmask_b32_e64 v7, -v9, v9, s19
	ds_bpermute_b32 v43, v2, v10
	ds_bpermute_b32 v47, v2, v55
	s_waitcnt lgkmcnt(8)
	v_add_f32_e32 v30, v42, v41
	ds_bpermute_b32 v41, v2, v60
	s_waitcnt lgkmcnt(8)
	v_add_f32_e32 v161, v8, v44
	s_waitcnt lgkmcnt(7)
	v_add_f32_e32 v162, v31, v45
	ds_bpermute_b32 v44, v2, v62
	ds_bpermute_b32 v45, v2, v63
	s_waitcnt lgkmcnt(8)
	v_add_f32_e32 v164, v7, v34
	ds_bpermute_b32 v34, v2, v11
	v_cndmask_b32_e64 v32, -v54, v54, s19
	ds_bpermute_b32 v42, v2, v61
	v_cndmask_b32_e64 v8, -v56, v56, s19
	v_cndmask_b32_e64 v9, -v59, v59, s19
	;; [unrolled: 1-line block ×3, first 2 shown]
	s_waitcnt lgkmcnt(9)
	v_add_f32_e32 v163, v32, v46
	ds_bpermute_b32 v46, v2, v64
	v_cndmask_b32_e64 v33, -v55, v55, s19
	v_cndmask_b32_e64 v32, -v60, v60, s19
	s_waitcnt lgkmcnt(9)
	v_add_f32_e32 v165, v8, v36
	s_waitcnt lgkmcnt(8)
	v_add_f32_e32 v166, v9, v40
	v_cndmask_b32_e64 v8, -v62, v62, s19
	v_cndmask_b32_e64 v9, -v63, v63, s19
	ds_bpermute_b32 v36, v2, v66
	ds_bpermute_b32 v40, v2, v67
	s_waitcnt lgkmcnt(9)
	v_add_f32_e32 v168, v7, v43
	v_cndmask_b32_e64 v7, -v11, v11, s19
	ds_bpermute_b32 v43, v2, v12
	s_waitcnt lgkmcnt(9)
	v_add_f32_e32 v31, v33, v47
	ds_bpermute_b32 v47, v2, v65
	s_waitcnt lgkmcnt(9)
	v_add_f32_e32 v167, v32, v41
	;; [unrolled: 3-line block ×3, first 2 shown]
	s_waitcnt lgkmcnt(8)
	v_add_f32_e32 v170, v9, v45
	v_cndmask_b32_e64 v9, -v67, v67, s19
	ds_bpermute_b32 v44, v2, v70
	s_waitcnt lgkmcnt(8)
	v_add_f32_e32 v67, v7, v34
	v_cndmask_b32_e64 v7, -v12, v12, s19
	ds_bpermute_b32 v12, v2, v13
	v_cndmask_b32_e64 v33, -v61, v61, s19
	v_cndmask_b32_e64 v10, -v64, v64, s19
	;; [unrolled: 1-line block ×4, first 2 shown]
	ds_bpermute_b32 v45, v2, v71
	s_waitcnt lgkmcnt(9)
	v_add_f32_e32 v32, v33, v42
	ds_bpermute_b32 v42, v2, v69
	s_waitcnt lgkmcnt(9)
	v_add_f32_e32 v171, v10, v46
	ds_bpermute_b32 v46, v2, v72
	v_cndmask_b32_e64 v33, -v65, v65, s19
	v_cndmask_b32_e64 v10, -v68, v68, s19
	s_waitcnt lgkmcnt(9)
	v_add_f32_e32 v68, v8, v36
	s_waitcnt lgkmcnt(8)
	v_add_f32_e32 v69, v9, v40
	v_cndmask_b32_e64 v8, -v70, v70, s19
	ds_bpermute_b32 v40, v2, v74
	s_waitcnt lgkmcnt(8)
	v_add_f32_e32 v70, v7, v43
	v_cndmask_b32_e64 v7, -v13, v13, s19
	ds_bpermute_b32 v13, v2, v14
	s_waitcnt lgkmcnt(8)
	v_add_f32_e32 v33, v33, v47
	ds_bpermute_b32 v47, v2, v73
	s_waitcnt lgkmcnt(8)
	v_add_f32_e32 v172, v10, v41
	v_cndmask_b32_e64 v9, -v71, v71, s19
	ds_bpermute_b32 v41, v2, v75
	s_waitcnt lgkmcnt(8)
	v_add_f32_e32 v71, v8, v44
	v_cndmask_b32_e64 v8, -v74, v74, s19
	ds_bpermute_b32 v43, v2, v78
	s_waitcnt lgkmcnt(8)
	v_add_f32_e32 v74, v7, v12
	ds_bpermute_b32 v12, v2, v15
	v_cndmask_b32_e64 v10, -v72, v72, s19
	ds_bpermute_b32 v49, v2, v77
	s_waitcnt lgkmcnt(8)
	v_add_f32_e32 v34, v11, v42
	v_cndmask_b32_e64 v11, -v73, v73, s19
	ds_bpermute_b32 v42, v2, v76
	s_waitcnt lgkmcnt(8)
	v_add_f32_e32 v73, v10, v46
	ds_bpermute_b32 v44, v2, v79
	ds_bpermute_b32 v46, v2, v81
	v_cndmask_b32_e64 v7, -v14, v14, s19
	ds_bpermute_b32 v14, v2, v82
	v_add_f32_e32 v72, v9, v45
	v_cndmask_b32_e64 v9, -v75, v75, s19
	ds_bpermute_b32 v45, v2, v80
	s_waitcnt lgkmcnt(11)
	v_add_f32_e32 v75, v8, v40
	v_cndmask_b32_e64 v8, -v78, v78, s19
	ds_bpermute_b32 v40, v2, v83
	s_waitcnt lgkmcnt(11)
	v_add_f32_e32 v78, v7, v13
	v_cndmask_b32_e64 v7, -v15, v15, s19
	ds_bpermute_b32 v13, v2, v16
	ds_bpermute_b32 v15, v2, v86
	s_waitcnt lgkmcnt(12)
	v_add_f32_e32 v36, v11, v47
	v_cndmask_b32_e64 v10, -v76, v76, s19
	v_cndmask_b32_e64 v11, -v77, v77, s19
	s_waitcnt lgkmcnt(11)
	v_add_f32_e32 v76, v9, v41
	v_cndmask_b32_e64 v9, -v79, v79, s19
	s_waitcnt lgkmcnt(10)
	v_add_f32_e32 v79, v8, v43
	;; [unrolled: 3-line block ×3, first 2 shown]
	ds_bpermute_b32 v12, v2, v17
	s_waitcnt lgkmcnt(9)
	v_add_f32_e32 v41, v11, v49
	v_cndmask_b32_e64 v11, -v81, v81, s19
	ds_bpermute_b32 v47, v2, v84
	ds_bpermute_b32 v49, v2, v85
	s_waitcnt lgkmcnt(10)
	v_add_f32_e32 v77, v10, v42
	v_cndmask_b32_e64 v10, -v80, v80, s19
	s_waitcnt lgkmcnt(9)
	v_add_f32_e32 v80, v9, v44
	s_waitcnt lgkmcnt(8)
	v_add_f32_e32 v42, v11, v46
	v_cndmask_b32_e64 v9, -v83, v83, s19
	ds_bpermute_b32 v44, v2, v87
	ds_bpermute_b32 v46, v2, v89
	s_waitcnt lgkmcnt(9)
	v_add_f32_e32 v83, v8, v14
	v_cndmask_b32_e64 v7, -v16, v16, s19
	v_cndmask_b32_e64 v8, -v86, v86, s19
	ds_bpermute_b32 v14, v2, v90
	s_waitcnt lgkmcnt(9)
	v_add_f32_e32 v81, v10, v45
	v_cndmask_b32_e64 v10, -v84, v84, s19
	ds_bpermute_b32 v45, v2, v88
	s_waitcnt lgkmcnt(9)
	v_add_f32_e32 v84, v9, v40
	;; [unrolled: 4-line block ×3, first 2 shown]
	s_waitcnt lgkmcnt(8)
	v_add_f32_e32 v87, v8, v15
	v_cndmask_b32_e64 v7, -v17, v17, s19
	ds_bpermute_b32 v13, v2, v18
	ds_bpermute_b32 v15, v2, v94
	v_cndmask_b32_e64 v11, -v85, v85, s19
	ds_bpermute_b32 v40, v2, v92
	v_cndmask_b32_e64 v8, -v90, v90, s19
	ds_bpermute_b32 v17, v2, v95
	s_waitcnt lgkmcnt(11)
	v_add_f32_e32 v90, v7, v12
	ds_bpermute_b32 v12, v2, v19
	s_waitcnt lgkmcnt(11)
	v_add_f32_e32 v85, v10, v47
	s_waitcnt lgkmcnt(10)
	v_add_f32_e32 v43, v11, v49
	v_cndmask_b32_e64 v11, -v89, v89, s19
	ds_bpermute_b32 v47, v2, v93
	v_cndmask_b32_e64 v10, -v88, v88, s19
	s_waitcnt lgkmcnt(10)
	v_add_f32_e32 v88, v9, v44
	v_cndmask_b32_e64 v9, -v91, v91, s19
	s_waitcnt lgkmcnt(9)
	v_add_f32_e32 v44, v11, v46
	ds_bpermute_b32 v46, v2, v96
	ds_bpermute_b32 v49, v2, v97
	s_waitcnt lgkmcnt(10)
	v_add_f32_e32 v91, v8, v14
	v_cndmask_b32_e64 v7, -v18, v18, s19
	v_cndmask_b32_e64 v8, -v94, v94, s19
	ds_bpermute_b32 v14, v2, v98
	s_waitcnt lgkmcnt(10)
	v_add_f32_e32 v89, v10, v45
	v_cndmask_b32_e64 v10, -v92, v92, s19
	s_waitcnt lgkmcnt(9)
	v_add_f32_e32 v92, v9, v16
	v_cndmask_b32_e64 v9, -v95, v95, s19
	ds_bpermute_b32 v16, v2, v99
	ds_bpermute_b32 v18, v2, v100
	s_waitcnt lgkmcnt(10)
	v_add_f32_e32 v94, v7, v13
	s_waitcnt lgkmcnt(9)
	v_add_f32_e32 v95, v8, v15
	v_cndmask_b32_e64 v7, -v19, v19, s19
	ds_bpermute_b32 v13, v2, v20
	ds_bpermute_b32 v15, v2, v102
	v_cndmask_b32_e64 v11, -v93, v93, s19
	s_waitcnt lgkmcnt(10)
	v_add_f32_e32 v93, v10, v40
	v_cndmask_b32_e64 v10, -v96, v96, s19
	s_waitcnt lgkmcnt(9)
	v_add_f32_e32 v96, v9, v17
	v_cndmask_b32_e64 v8, -v98, v98, s19
	ds_bpermute_b32 v17, v2, v103
	s_waitcnt lgkmcnt(9)
	v_add_f32_e32 v98, v7, v12
	ds_bpermute_b32 v12, v2, v21
	s_waitcnt lgkmcnt(9)
	v_add_f32_e32 v45, v11, v47
	v_cndmask_b32_e64 v11, -v97, v97, s19
	ds_bpermute_b32 v40, v2, v101
	s_waitcnt lgkmcnt(9)
	v_add_f32_e32 v97, v10, v46
	v_cndmask_b32_e64 v9, -v99, v99, s19
	v_cndmask_b32_e64 v10, -v100, v100, s19
	s_waitcnt lgkmcnt(8)
	v_add_f32_e32 v46, v11, v49
	ds_bpermute_b32 v19, v2, v104
	ds_bpermute_b32 v49, v2, v105
	s_waitcnt lgkmcnt(9)
	v_add_f32_e32 v99, v8, v14
	v_cndmask_b32_e64 v7, -v20, v20, s19
	v_cndmask_b32_e64 v8, -v102, v102, s19
	ds_bpermute_b32 v14, v2, v106
	v_cndmask_b32_e64 v11, -v101, v101, s19
	s_waitcnt lgkmcnt(9)
	v_add_f32_e32 v100, v9, v16
	s_waitcnt lgkmcnt(8)
	v_add_f32_e32 v101, v10, v18
	v_cndmask_b32_e64 v9, -v103, v103, s19
	ds_bpermute_b32 v16, v2, v107
	ds_bpermute_b32 v18, v2, v108
	;; [unrolled: 1-line block ×3, first 2 shown]
	s_waitcnt lgkmcnt(10)
	v_add_f32_e32 v102, v7, v13
	s_waitcnt lgkmcnt(9)
	v_add_f32_e32 v103, v8, v15
	v_cndmask_b32_e64 v7, -v21, v21, s19
	ds_bpermute_b32 v13, v2, v22
	ds_bpermute_b32 v15, v2, v110
	v_cndmask_b32_e64 v10, -v104, v104, s19
	s_waitcnt lgkmcnt(10)
	v_add_f32_e32 v104, v9, v17
	v_cndmask_b32_e64 v8, -v106, v106, s19
	ds_bpermute_b32 v17, v2, v111
	s_waitcnt lgkmcnt(10)
	v_add_f32_e32 v106, v7, v12
	ds_bpermute_b32 v12, v2, v23
	s_waitcnt lgkmcnt(10)
	v_add_f32_e32 v47, v11, v40
	v_cndmask_b32_e64 v11, -v105, v105, s19
	s_waitcnt lgkmcnt(9)
	v_add_f32_e32 v105, v10, v19
	v_cndmask_b32_e64 v9, -v107, v107, s19
	v_cndmask_b32_e64 v10, -v108, v108, s19
	ds_bpermute_b32 v19, v2, v112
	s_waitcnt lgkmcnt(9)
	v_add_f32_e32 v49, v11, v49
	v_cndmask_b32_e64 v11, -v109, v109, s19
	ds_bpermute_b32 v21, v2, v113
	s_waitcnt lgkmcnt(9)
	v_add_f32_e32 v107, v8, v14
	v_cndmask_b32_e64 v7, -v22, v22, s19
	v_cndmask_b32_e64 v8, -v110, v110, s19
	ds_bpermute_b32 v14, v2, v114
	s_waitcnt lgkmcnt(9)
	v_add_f32_e32 v108, v9, v16
	s_waitcnt lgkmcnt(8)
	v_add_f32_e32 v109, v10, v18
	;; [unrolled: 2-line block ×3, first 2 shown]
	v_cndmask_b32_e64 v9, -v111, v111, s19
	ds_bpermute_b32 v16, v2, v115
	ds_bpermute_b32 v18, v2, v116
	;; [unrolled: 1-line block ×3, first 2 shown]
	s_waitcnt lgkmcnt(9)
	v_add_f32_e32 v110, v7, v13
	s_waitcnt lgkmcnt(8)
	v_add_f32_e32 v111, v8, v15
	v_cndmask_b32_e64 v7, -v23, v23, s19
	ds_bpermute_b32 v13, v2, v24
	ds_bpermute_b32 v15, v2, v118
	v_cndmask_b32_e64 v10, -v112, v112, s19
	s_waitcnt lgkmcnt(9)
	v_add_f32_e32 v112, v9, v17
	v_cndmask_b32_e64 v8, -v114, v114, s19
	ds_bpermute_b32 v17, v2, v119
	s_waitcnt lgkmcnt(9)
	v_add_f32_e32 v114, v7, v12
	ds_bpermute_b32 v12, v2, v25
	v_cndmask_b32_e64 v11, -v113, v113, s19
	s_waitcnt lgkmcnt(9)
	v_add_f32_e32 v113, v10, v19
	v_cndmask_b32_e64 v9, -v115, v115, s19
	v_cndmask_b32_e64 v10, -v116, v116, s19
	ds_bpermute_b32 v19, v2, v120
	s_waitcnt lgkmcnt(9)
	v_add_f32_e32 v51, v11, v21
	v_cndmask_b32_e64 v11, -v117, v117, s19
	ds_bpermute_b32 v21, v2, v121
	s_waitcnt lgkmcnt(9)
	v_add_f32_e32 v115, v8, v14
	v_cndmask_b32_e64 v7, -v24, v24, s19
	v_cndmask_b32_e64 v8, -v118, v118, s19
	ds_bpermute_b32 v14, v2, v122
	s_waitcnt lgkmcnt(9)
	v_add_f32_e32 v116, v9, v16
	s_waitcnt lgkmcnt(8)
	v_add_f32_e32 v117, v10, v18
	;; [unrolled: 2-line block ×3, first 2 shown]
	v_cndmask_b32_e64 v9, -v119, v119, s19
	ds_bpermute_b32 v16, v2, v123
	ds_bpermute_b32 v18, v2, v124
	;; [unrolled: 1-line block ×3, first 2 shown]
	s_waitcnt lgkmcnt(9)
	v_add_f32_e32 v118, v7, v13
	s_waitcnt lgkmcnt(8)
	v_add_f32_e32 v119, v8, v15
	v_cndmask_b32_e64 v7, -v25, v25, s19
	ds_bpermute_b32 v13, v2, v26
	ds_bpermute_b32 v15, v2, v126
	v_cndmask_b32_e64 v10, -v120, v120, s19
	s_waitcnt lgkmcnt(9)
	v_add_f32_e32 v120, v9, v17
	v_cndmask_b32_e64 v8, -v122, v122, s19
	ds_bpermute_b32 v17, v2, v127
	s_waitcnt lgkmcnt(9)
	v_add_f32_e32 v122, v7, v12
	ds_bpermute_b32 v12, v2, v27
	v_cndmask_b32_e64 v11, -v121, v121, s19
	s_waitcnt lgkmcnt(9)
	v_add_f32_e32 v121, v10, v19
	v_cndmask_b32_e64 v9, -v123, v123, s19
	v_cndmask_b32_e64 v10, -v124, v124, s19
	ds_bpermute_b32 v19, v2, v129
	s_waitcnt lgkmcnt(9)
	v_add_f32_e32 v53, v11, v21
	v_cndmask_b32_e64 v11, -v125, v125, s19
	ds_bpermute_b32 v21, v2, v131
	s_waitcnt lgkmcnt(9)
	v_add_f32_e32 v123, v8, v14
	v_cndmask_b32_e64 v7, -v26, v26, s19
	v_cndmask_b32_e64 v8, -v126, v126, s19
	ds_bpermute_b32 v14, v2, v133
	s_waitcnt lgkmcnt(9)
	v_add_f32_e32 v124, v9, v16
	s_waitcnt lgkmcnt(8)
	v_add_f32_e32 v125, v10, v18
	;; [unrolled: 2-line block ×3, first 2 shown]
	v_cndmask_b32_e64 v9, -v127, v127, s19
	ds_bpermute_b32 v16, v2, v147
	ds_bpermute_b32 v18, v2, v148
	;; [unrolled: 1-line block ×3, first 2 shown]
	s_waitcnt lgkmcnt(9)
	v_add_f32_e32 v126, v7, v13
	s_waitcnt lgkmcnt(8)
	v_add_f32_e32 v127, v8, v15
	v_cndmask_b32_e64 v7, -v27, v27, s19
	ds_bpermute_b32 v15, v2, v57
	v_cndmask_b32_e64 v10, -v129, v129, s19
	s_waitcnt lgkmcnt(8)
	v_add_f32_e32 v129, v9, v17
	v_cndmask_b32_e64 v8, -v133, v133, s19
	ds_bpermute_b32 v17, v2, v58
	s_waitcnt lgkmcnt(8)
	v_add_f32_e32 v133, v7, v12
	ds_bpermute_b32 v12, v2, v183
	v_cndmask_b32_e64 v11, -v131, v131, s19
	s_waitcnt lgkmcnt(8)
	v_add_f32_e32 v131, v10, v19
	v_cndmask_b32_e64 v9, -v147, v147, s19
	v_cndmask_b32_e64 v10, -v148, v148, s19
	ds_bpermute_b32 v13, v2, v28
	s_waitcnt lgkmcnt(8)
	v_add_f32_e32 v55, v11, v21
	v_cndmask_b32_e64 v11, -v149, v149, s19
	s_waitcnt lgkmcnt(7)
	v_add_f32_e32 v147, v8, v14
	v_cndmask_b32_e64 v8, -v57, v57, s19
	s_waitcnt lgkmcnt(6)
	v_add_f32_e32 v148, v9, v16
	s_waitcnt lgkmcnt(5)
	v_add_f32_e32 v149, v10, v18
	;; [unrolled: 2-line block ×3, first 2 shown]
	v_cndmask_b32_e64 v9, -v58, v58, s19
	ds_bpermute_b32 v10, v2, v3
	ds_bpermute_b32 v11, v2, v182
	s_waitcnt lgkmcnt(5)
	v_add_f32_e32 v176, v8, v15
	v_cndmask_b32_e64 v8, -v183, v183, s19
	ds_bpermute_b32 v14, v2, v5
	ds_bpermute_b32 v16, v2, v173
	s_waitcnt lgkmcnt(6)
	v_add_f32_e32 v177, v9, v17
	ds_bpermute_b32 v9, v2, v179
	s_waitcnt lgkmcnt(6)
	v_add_f32_e32 v59, v8, v12
	v_xor_b32_e32 v8, 16, v1
	v_cndmask_b32_e64 v7, -v28, v28, s19
	v_cndmask_b32_e64 v3, -v3, v3, s19
	ds_bpermute_b32 v15, v2, v181
	v_add_f32_e32 v39, v39, v137
	v_cmp_gt_i32_e64 s20, 32, v8
	s_waitcnt lgkmcnt(6)
	v_add_f32_e32 v175, v7, v13
	v_cndmask_b32_e64 v7, -v182, v182, s19
	ds_bpermute_b32 v13, v2, v180
	ds_bpermute_b32 v19, v2, v35
	v_cndmask_b32_e64 v1, v1, v8, s20
	v_cndmask_b32_e64 v5, -v5, v5, s19
	v_cndmask_b32_e64 v17, -v173, v173, s19
	s_waitcnt lgkmcnt(7)
	v_add_f32_e32 v57, v3, v10
	s_waitcnt lgkmcnt(6)
	v_add_f32_e32 v58, v7, v11
	v_cndmask_b32_e64 v3, -v179, v179, s19
	ds_bpermute_b32 v10, v2, v174
	ds_bpermute_b32 v11, v2, v150
	;; [unrolled: 1-line block ×3, first 2 shown]
	v_lshlrev_b32_e32 v63, 2, v1
	ds_bpermute_b32 v21, v2, v39
	s_waitcnt lgkmcnt(9)
	v_add_f32_e32 v60, v5, v14
	s_waitcnt lgkmcnt(8)
	v_add_f32_e32 v40, v17, v16
	ds_bpermute_b32 v2, v2, v152
	s_waitcnt lgkmcnt(8)
	v_add_f32_e32 v173, v3, v9
	ds_bpermute_b32 v9, v63, v4
	ds_bpermute_b32 v14, v63, v153
	;; [unrolled: 1-line block ×3, first 2 shown]
	v_cndmask_b32_e64 v5, -v180, v180, s19
	v_cndmask_b32_e64 v7, -v181, v181, s19
	v_and_b32_e32 v8, 16, v0
	v_cndmask_b32_e64 v18, -v35, v35, s19
	v_cndmask_b32_e64 v20, -v39, v39, s19
	s_waitcnt lgkmcnt(9)
	v_add_f32_e32 v61, v5, v13
	v_add_f32_e32 v62, v7, v15
	v_cndmask_b32_e64 v3, -v174, v174, s19
	v_cndmask_b32_e64 v1, -v150, v150, s19
	;; [unrolled: 1-line block ×4, first 2 shown]
	ds_bpermute_b32 v13, v63, v6
	ds_bpermute_b32 v15, v63, v154
	v_cmp_eq_u32_e64 s19, 0, v8
	s_waitcnt lgkmcnt(10)
	v_add_f32_e32 v178, v18, v19
	s_waitcnt lgkmcnt(9)
	v_add_f32_e32 v150, v3, v10
	;; [unrolled: 2-line block ×4, first 2 shown]
	v_cndmask_b32_e64 v1, -v4, v4, s19
	v_cndmask_b32_e64 v3, -v153, v153, s19
	v_cndmask_b32_e64 v10, -v155, v155, s19
	ds_bpermute_b32 v12, v63, v156
	ds_bpermute_b32 v18, v63, v158
	s_waitcnt lgkmcnt(7)
	v_add_f32_e32 v66, v7, v2
	ds_bpermute_b32 v11, v63, v29
	s_waitcnt lgkmcnt(7)
	v_add_f32_e32 v5, v1, v9
	s_waitcnt lgkmcnt(6)
	v_add_f32_e32 v7, v3, v14
	s_waitcnt lgkmcnt(5)
	v_add_f32_e32 v1, v10, v16
	ds_bpermute_b32 v14, v63, v160
	ds_bpermute_b32 v16, v63, v162
	v_add_f32_e32 v39, v20, v21
	v_cndmask_b32_e64 v2, -v6, v6, s19
	v_cndmask_b32_e64 v4, -v154, v154, s19
	ds_bpermute_b32 v17, v63, v157
	ds_bpermute_b32 v19, v63, v159
	;; [unrolled: 1-line block ×3, first 2 shown]
	s_waitcnt lgkmcnt(9)
	v_add_f32_e32 v6, v2, v13
	s_waitcnt lgkmcnt(8)
	v_add_f32_e32 v8, v4, v15
	v_cndmask_b32_e64 v3, -v156, v156, s19
	v_cndmask_b32_e64 v9, -v158, v158, s19
	ds_bpermute_b32 v13, v63, v30
	ds_bpermute_b32 v15, v63, v161
	;; [unrolled: 1-line block ×3, first 2 shown]
	v_cndmask_b32_e64 v2, -v29, v29, s19
	s_waitcnt lgkmcnt(10)
	v_add_f32_e32 v3, v3, v12
	s_waitcnt lgkmcnt(9)
	v_add_f32_e32 v9, v9, v18
	v_cndmask_b32_e64 v12, -v160, v160, s19
	v_cndmask_b32_e64 v18, -v162, v162, s19
	ds_bpermute_b32 v22, v63, v164
	ds_bpermute_b32 v23, v63, v165
	;; [unrolled: 1-line block ×3, first 2 shown]
	v_cndmask_b32_e64 v4, -v157, v157, s19
	v_cndmask_b32_e64 v10, -v159, v159, s19
	s_waitcnt lgkmcnt(11)
	v_add_f32_e32 v2, v2, v11
	v_cndmask_b32_e64 v11, -v30, v30, s19
	ds_bpermute_b32 v25, v63, v167
	s_waitcnt lgkmcnt(11)
	v_add_f32_e32 v12, v12, v14
	s_waitcnt lgkmcnt(10)
	v_add_f32_e32 v14, v18, v16
	v_cndmask_b32_e64 v16, -v31, v31, s19
	ds_bpermute_b32 v26, v63, v32
	ds_bpermute_b32 v27, v63, v168
	;; [unrolled: 1-line block ×5, first 2 shown]
	s_waitcnt lgkmcnt(14)
	v_add_f32_e32 v4, v4, v17
	s_waitcnt lgkmcnt(13)
	v_add_f32_e32 v10, v10, v19
	v_cndmask_b32_e64 v17, -v161, v161, s19
	v_cndmask_b32_e64 v19, -v163, v163, s19
	s_waitcnt lgkmcnt(12)
	v_add_f32_e32 v16, v16, v21
	v_cndmask_b32_e64 v21, -v32, v32, s19
	ds_bpermute_b32 v32, v63, v33
	ds_bpermute_b32 v35, v63, v67
	;; [unrolled: 1-line block ×5, first 2 shown]
	s_waitcnt lgkmcnt(16)
	v_add_f32_e32 v11, v11, v13
	s_waitcnt lgkmcnt(15)
	v_add_f32_e32 v13, v17, v15
	;; [unrolled: 2-line block ×3, first 2 shown]
	v_cndmask_b32_e64 v17, -v164, v164, s19
	v_cndmask_b32_e64 v18, -v165, v165, s19
	;; [unrolled: 1-line block ×5, first 2 shown]
	s_waitcnt lgkmcnt(13)
	v_add_f32_e32 v17, v17, v22
	s_waitcnt lgkmcnt(12)
	v_add_f32_e32 v18, v18, v23
	;; [unrolled: 2-line block ×3, first 2 shown]
	v_cndmask_b32_e64 v22, -v168, v168, s19
	v_cndmask_b32_e64 v23, -v169, v169, s19
	;; [unrolled: 1-line block ×3, first 2 shown]
	s_waitcnt lgkmcnt(10)
	v_add_f32_e32 v20, v20, v25
	s_waitcnt lgkmcnt(9)
	v_add_f32_e32 v25, v21, v26
	;; [unrolled: 2-line block ×6, first 2 shown]
	v_cndmask_b32_e64 v22, -v33, v33, s19
	v_cndmask_b32_e64 v23, -v67, v67, s19
	v_cndmask_b32_e64 v24, -v68, v68, s19
	v_cndmask_b32_e64 v29, -v69, v69, s19
	v_cndmask_b32_e64 v30, -v172, v172, s19
	ds_bpermute_b32 v31, v63, v34
	ds_bpermute_b32 v33, v63, v70
	ds_bpermute_b32 v67, v63, v71
	ds_bpermute_b32 v68, v63, v72
	ds_bpermute_b32 v69, v63, v73
	s_waitcnt lgkmcnt(9)
	v_add_f32_e32 v22, v22, v32
	s_waitcnt lgkmcnt(8)
	v_add_f32_e32 v23, v23, v35
	s_waitcnt lgkmcnt(7)
	v_add_f32_e32 v24, v24, v128
	s_waitcnt lgkmcnt(6)
	v_add_f32_e32 v29, v29, v130
	s_waitcnt lgkmcnt(5)
	v_add_f32_e32 v30, v30, v132
	v_cndmask_b32_e64 v32, -v34, v34, s19
	v_cndmask_b32_e64 v34, -v70, v70, s19
	v_cndmask_b32_e64 v35, -v71, v71, s19
	v_cndmask_b32_e64 v70, -v72, v72, s19
	v_cndmask_b32_e64 v71, -v73, v73, s19
	ds_bpermute_b32 v72, v63, v36
	ds_bpermute_b32 v73, v63, v74
	ds_bpermute_b32 v128, v63, v75
	ds_bpermute_b32 v130, v63, v76
	ds_bpermute_b32 v132, v63, v77
	s_waitcnt lgkmcnt(9)
	v_add_f32_e32 v31, v32, v31
	s_waitcnt lgkmcnt(8)
	v_add_f32_e32 v32, v34, v33
	s_waitcnt lgkmcnt(7)
	v_add_f32_e32 v33, v35, v67
	s_waitcnt lgkmcnt(6)
	v_add_f32_e32 v34, v70, v68
	s_waitcnt lgkmcnt(5)
	v_add_f32_e32 v35, v71, v69
	;; [unrolled: 20-line block ×3, first 2 shown]
	v_cndmask_b32_e64 v72, -v78, v78, s19
	v_cndmask_b32_e64 v73, -v79, v79, s19
	;; [unrolled: 1-line block ×4, first 2 shown]
	ds_bpermute_b32 v80, v63, v42
	ds_bpermute_b32 v81, v63, v82
	;; [unrolled: 1-line block ×5, first 2 shown]
	v_cndmask_b32_e64 v41, -v41, v41, s19
	ds_bpermute_b32 v134, v63, v88
	s_waitcnt lgkmcnt(9)
	v_add_f32_e32 v72, v72, v74
	s_waitcnt lgkmcnt(8)
	v_add_f32_e32 v73, v73, v75
	;; [unrolled: 2-line block ×3, first 2 shown]
	v_add_f32_e32 v71, v41, v71
	s_waitcnt lgkmcnt(6)
	v_add_f32_e32 v75, v79, v77
	v_cndmask_b32_e64 v41, -v42, v42, s19
	v_cndmask_b32_e64 v42, -v82, v82, s19
	;; [unrolled: 1-line block ×5, first 2 shown]
	ds_bpermute_b32 v83, v63, v43
	ds_bpermute_b32 v84, v63, v86
	;; [unrolled: 1-line block ×4, first 2 shown]
	s_waitcnt lgkmcnt(9)
	v_add_f32_e32 v76, v41, v80
	s_waitcnt lgkmcnt(8)
	v_add_f32_e32 v77, v42, v81
	;; [unrolled: 2-line block ×5, first 2 shown]
	v_cndmask_b32_e64 v41, -v43, v43, s19
	v_cndmask_b32_e64 v42, -v86, v86, s19
	;; [unrolled: 1-line block ×5, first 2 shown]
	ds_bpermute_b32 v88, v63, v44
	ds_bpermute_b32 v89, v63, v90
	;; [unrolled: 1-line block ×5, first 2 shown]
	v_cndmask_b32_e64 v44, -v44, v44, s19
	s_waitcnt lgkmcnt(8)
	v_add_f32_e32 v81, v41, v83
	s_waitcnt lgkmcnt(7)
	v_add_f32_e32 v82, v42, v84
	s_waitcnt lgkmcnt(6)
	v_add_f32_e32 v41, v43, v85
	v_add_f32_e32 v42, v86, v134
	s_waitcnt lgkmcnt(5)
	v_add_f32_e32 v43, v87, v135
	v_cndmask_b32_e64 v83, -v90, v90, s19
	v_cndmask_b32_e64 v84, -v91, v91, s19
	;; [unrolled: 1-line block ×4, first 2 shown]
	ds_bpermute_b32 v87, v63, v45
	ds_bpermute_b32 v90, v63, v94
	ds_bpermute_b32 v91, v63, v95
	ds_bpermute_b32 v92, v63, v96
	ds_bpermute_b32 v93, v63, v97
	s_waitcnt lgkmcnt(9)
	v_add_f32_e32 v44, v44, v88
	s_waitcnt lgkmcnt(8)
	v_add_f32_e32 v83, v83, v89
	;; [unrolled: 2-line block ×5, first 2 shown]
	v_cndmask_b32_e64 v88, -v94, v94, s19
	v_cndmask_b32_e64 v89, -v95, v95, s19
	;; [unrolled: 1-line block ×4, first 2 shown]
	ds_bpermute_b32 v96, v63, v46
	ds_bpermute_b32 v97, v63, v98
	;; [unrolled: 1-line block ×6, first 2 shown]
	v_cndmask_b32_e64 v45, -v45, v45, s19
	s_waitcnt lgkmcnt(9)
	v_add_f32_e32 v88, v88, v90
	s_waitcnt lgkmcnt(8)
	v_add_f32_e32 v89, v89, v91
	;; [unrolled: 2-line block ×4, first 2 shown]
	v_add_f32_e32 v87, v45, v87
	v_cndmask_b32_e64 v45, -v46, v46, s19
	v_cndmask_b32_e64 v46, -v98, v98, s19
	;; [unrolled: 1-line block ×5, first 2 shown]
	ds_bpermute_b32 v99, v63, v47
	ds_bpermute_b32 v101, v63, v103
	;; [unrolled: 1-line block ×4, first 2 shown]
	s_waitcnt lgkmcnt(9)
	v_add_f32_e32 v92, v45, v96
	s_waitcnt lgkmcnt(8)
	v_add_f32_e32 v93, v46, v97
	s_waitcnt lgkmcnt(7)
	v_add_f32_e32 v94, v94, v128
	s_waitcnt lgkmcnt(6)
	v_add_f32_e32 v97, v95, v130
	s_waitcnt lgkmcnt(5)
	v_add_f32_e32 v98, v98, v132
	v_cndmask_b32_e64 v95, -v104, v104, s19
	v_cndmask_b32_e64 v96, -v105, v105, s19
	ds_bpermute_b32 v104, v63, v49
	ds_bpermute_b32 v128, v63, v107
	;; [unrolled: 1-line block ×4, first 2 shown]
	v_cndmask_b32_e64 v45, -v47, v47, s19
	v_cndmask_b32_e64 v47, -v103, v103, s19
	s_waitcnt lgkmcnt(8)
	v_add_f32_e32 v103, v96, v135
	ds_bpermute_b32 v96, v63, v50
	ds_bpermute_b32 v105, v63, v106
	;; [unrolled: 1-line block ×3, first 2 shown]
	v_cndmask_b32_e64 v46, -v102, v102, s19
	s_waitcnt lgkmcnt(10)
	v_add_f32_e32 v99, v45, v99
	s_waitcnt lgkmcnt(9)
	v_add_f32_e32 v101, v47, v101
	;; [unrolled: 2-line block ×3, first 2 shown]
	v_cndmask_b32_e64 v45, -v49, v49, s19
	v_cndmask_b32_e64 v47, -v107, v107, s19
	;; [unrolled: 1-line block ×4, first 2 shown]
	ds_bpermute_b32 v134, v63, v110
	ds_bpermute_b32 v135, v63, v111
	;; [unrolled: 1-line block ×3, first 2 shown]
	s_waitcnt lgkmcnt(10)
	v_add_f32_e32 v100, v46, v100
	v_cndmask_b32_e64 v46, -v106, v106, s19
	s_waitcnt lgkmcnt(9)
	v_add_f32_e32 v104, v45, v104
	s_waitcnt lgkmcnt(8)
	v_add_f32_e32 v106, v47, v128
	s_waitcnt lgkmcnt(7)
	v_add_f32_e32 v107, v49, v130
	s_waitcnt lgkmcnt(6)
	v_add_f32_e32 v108, v95, v132
	v_cndmask_b32_e64 v45, -v50, v50, s19
	ds_bpermute_b32 v95, v63, v51
	ds_bpermute_b32 v128, v63, v114
	;; [unrolled: 1-line block ×4, first 2 shown]
	v_cndmask_b32_e64 v50, -v113, v113, s19
	s_waitcnt lgkmcnt(9)
	v_add_f32_e32 v109, v45, v96
	ds_bpermute_b32 v96, v63, v118
	s_waitcnt lgkmcnt(9)
	v_add_f32_e32 v105, v46, v105
	v_cndmask_b32_e64 v46, -v110, v110, s19
	v_cndmask_b32_e64 v47, -v111, v111, s19
	;; [unrolled: 1-line block ×3, first 2 shown]
	ds_bpermute_b32 v138, v63, v117
	s_waitcnt lgkmcnt(9)
	v_add_f32_e32 v113, v50, v137
	v_cndmask_b32_e64 v50, -v117, v117, s19
	ds_bpermute_b32 v117, v63, v119
	s_waitcnt lgkmcnt(9)
	v_add_f32_e32 v110, v46, v134
	s_waitcnt lgkmcnt(8)
	v_add_f32_e32 v111, v47, v135
	;; [unrolled: 2-line block ×3, first 2 shown]
	v_cndmask_b32_e64 v45, -v51, v51, s19
	v_cndmask_b32_e64 v46, -v114, v114, s19
	;; [unrolled: 1-line block ×4, first 2 shown]
	ds_bpermute_b32 v51, v63, v52
	ds_bpermute_b32 v134, v63, v120
	;; [unrolled: 1-line block ×3, first 2 shown]
	s_waitcnt lgkmcnt(9)
	v_add_f32_e32 v114, v45, v95
	s_waitcnt lgkmcnt(8)
	v_add_f32_e32 v115, v46, v128
	;; [unrolled: 2-line block ×4, first 2 shown]
	v_cndmask_b32_e64 v46, -v118, v118, s19
	v_cndmask_b32_e64 v47, -v119, v119, s19
	;; [unrolled: 1-line block ×4, first 2 shown]
	ds_bpermute_b32 v120, v63, v53
	ds_bpermute_b32 v121, v63, v122
	;; [unrolled: 1-line block ×3, first 2 shown]
	v_cndmask_b32_e64 v45, -v52, v52, s19
	ds_bpermute_b32 v128, v63, v123
	s_waitcnt lgkmcnt(9)
	v_add_f32_e32 v52, v46, v96
	ds_bpermute_b32 v96, v63, v54
	s_waitcnt lgkmcnt(8)
	v_add_f32_e32 v117, v47, v117
	v_cndmask_b32_e64 v47, -v123, v123, s19
	ds_bpermute_b32 v123, v63, v127
	s_waitcnt lgkmcnt(8)
	v_add_f32_e32 v51, v45, v51
	s_waitcnt lgkmcnt(7)
	v_add_f32_e32 v118, v95, v134
	v_cndmask_b32_e64 v45, -v53, v53, s19
	v_cndmask_b32_e64 v46, -v122, v122, s19
	;; [unrolled: 1-line block ×3, first 2 shown]
	ds_bpermute_b32 v122, v63, v126
	ds_bpermute_b32 v130, v63, v124
	s_waitcnt lgkmcnt(8)
	v_add_f32_e32 v119, v119, v135
	v_cndmask_b32_e64 v53, -v124, v124, s19
	ds_bpermute_b32 v124, v63, v129
	s_waitcnt lgkmcnt(8)
	v_add_f32_e32 v120, v45, v120
	s_waitcnt lgkmcnt(7)
	v_add_f32_e32 v134, v46, v121
	;; [unrolled: 2-line block ×3, first 2 shown]
	v_cndmask_b32_e64 v45, -v54, v54, s19
	ds_bpermute_b32 v95, v63, v55
	ds_bpermute_b32 v121, v63, v133
	s_waitcnt lgkmcnt(7)
	v_add_f32_e32 v135, v47, v128
	v_cndmask_b32_e64 v47, -v127, v127, s19
	s_waitcnt lgkmcnt(6)
	v_add_f32_e32 v125, v45, v96
	v_cndmask_b32_e64 v45, -v55, v55, s19
	ds_bpermute_b32 v55, v63, v56
	ds_bpermute_b32 v96, v63, v175
	v_cndmask_b32_e64 v46, -v126, v126, s19
	ds_bpermute_b32 v139, v63, v148
	s_waitcnt lgkmcnt(8)
	v_add_f32_e32 v127, v47, v123
	ds_bpermute_b32 v123, v63, v177
	ds_bpermute_b32 v132, v63, v147
	s_waitcnt lgkmcnt(9)
	v_add_f32_e32 v126, v46, v122
	v_cndmask_b32_e64 v46, -v133, v133, s19
	v_add_f32_e32 v50, v50, v138
	ds_bpermute_b32 v138, v63, v131
	s_waitcnt lgkmcnt(9)
	v_add_f32_e32 v136, v53, v130
	v_cndmask_b32_e64 v53, -v129, v129, s19
	v_cndmask_b32_e64 v54, -v131, v131, s19
	ds_bpermute_b32 v122, v63, v176
	s_waitcnt lgkmcnt(8)
	v_add_f32_e32 v130, v45, v95
	s_waitcnt lgkmcnt(7)
	v_add_f32_e32 v131, v46, v121
	v_cndmask_b32_e64 v45, -v56, v56, s19
	v_cndmask_b32_e64 v46, -v175, v175, s19
	ds_bpermute_b32 v133, v63, v39
	v_add_f32_e32 v128, v53, v124
	v_cndmask_b32_e64 v53, -v148, v148, s19
	v_cndmask_b32_e64 v95, -v177, v177, s19
	ds_bpermute_b32 v142, v63, v57
	ds_bpermute_b32 v143, v63, v58
	s_waitcnt lgkmcnt(9)
	v_add_f32_e32 v55, v45, v55
	s_waitcnt lgkmcnt(8)
	v_add_f32_e32 v56, v46, v96
	ds_bpermute_b32 v45, v63, v40
	ds_bpermute_b32 v46, v63, v173
	v_cndmask_b32_e64 v47, -v147, v147, s19
	s_waitcnt lgkmcnt(9)
	v_add_f32_e32 v53, v53, v139
	ds_bpermute_b32 v144, v63, v59
	ds_bpermute_b32 v145, v63, v60
	s_waitcnt lgkmcnt(10)
	v_add_f32_e32 v139, v95, v123
	ds_bpermute_b32 v95, v63, v61
	ds_bpermute_b32 v96, v63, v62
	s_waitcnt lgkmcnt(11)
	v_add_f32_e32 v132, v47, v132
	v_cndmask_b32_e64 v47, -v176, v176, s19
	v_cndmask_b32_e64 v39, -v39, v39, s19
	ds_bpermute_b32 v140, v63, v149
	s_waitcnt lgkmcnt(11)
	v_add_f32_e32 v129, v54, v138
	ds_bpermute_b32 v124, v63, v178
	s_waitcnt lgkmcnt(11)
	v_add_f32_e32 v138, v47, v122
	v_cndmask_b32_e64 v47, -v57, v57, s19
	v_cndmask_b32_e64 v58, -v58, v58, s19
	s_waitcnt lgkmcnt(10)
	v_add_f32_e32 v141, v39, v133
	v_cndmask_b32_e64 v39, -v40, v40, s19
	v_cndmask_b32_e64 v40, -v173, v173, s19
	v_cndmask_b32_e64 v59, -v59, v59, s19
	v_cndmask_b32_e64 v60, -v60, v60, s19
	s_waitcnt lgkmcnt(9)
	v_add_f32_e32 v57, v47, v142
	s_waitcnt lgkmcnt(8)
	v_add_f32_e32 v58, v58, v143
	;; [unrolled: 2-line block ×4, first 2 shown]
	v_cndmask_b32_e64 v39, -v61, v61, s19
	v_cndmask_b32_e64 v40, -v62, v62, s19
	v_and_b32_e32 v46, 7, v0
	v_lshrrev_b32_e32 v62, 3, v0
	s_waitcnt lgkmcnt(5)
	v_add_f32_e32 v59, v59, v144
	s_waitcnt lgkmcnt(4)
	v_add_f32_e32 v60, v60, v145
	s_waitcnt lgkmcnt(3)
	v_add_f32_e32 v144, v39, v95
	s_waitcnt lgkmcnt(2)
	v_add_f32_e32 v145, v40, v96
	v_lshrrev_b32_e32 v39, 5, v0
	v_lshl_or_b32 v40, v46, 5, v62
	v_cndmask_b32_e64 v54, -v149, v149, s19
	v_cndmask_b32_e64 v121, -v178, v178, s19
	;; [unrolled: 1-line block ×3, first 2 shown]
	v_xor_b32_e32 v0, v39, v0
	v_xor_b32_e32 v39, v40, v46
	s_waitcnt lgkmcnt(1)
	v_add_f32_e32 v54, v54, v140
	s_waitcnt lgkmcnt(0)
	v_add_f32_e32 v140, v121, v124
	ds_bpermute_b32 v121, v63, v150
	v_lshl_add_u32 v124, v0, 4, 0
	v_lshl_add_u32 v96, v39, 4, 0
	s_waitcnt lgkmcnt(0)
	s_waitcnt_vscnt null, 0x0
	s_barrier
	buffer_gl0_inv
	ds_write_b128 v124, v[5:8]
	ds_write_b128 v124, v[1:4] offset:4096
	ds_write_b128 v124, v[9:12] offset:8192
	;; [unrolled: 1-line block ×7, first 2 shown]
	s_waitcnt lgkmcnt(0)
	s_barrier
	buffer_gl0_inv
	ds_read_b128 v[147:150], v96
	ds_read_b128 v[151:154], v96 offset:4096
	ds_read_b128 v[155:158], v96 offset:8192
	ds_read_b128 v[159:162], v96 offset:12288
	ds_read_b128 v[163:166], v96 offset:16384
	ds_read_b128 v[167:170], v96 offset:20480
	ds_read_b128 v[171:174], v96 offset:24576
	ds_read_b128 v[175:178], v96 offset:28672
	ds_bpermute_b32 v47, v63, v64
	s_waitcnt lgkmcnt(0)
	s_barrier
	buffer_gl0_inv
	ds_write_b128 v124, v[33:36]
	ds_write_b128 v124, v[67:70] offset:4096
	ds_write_b128 v124, v[71:74] offset:8192
	;; [unrolled: 1-line block ×7, first 2 shown]
	ds_bpermute_b32 v122, v63, v65
	ds_bpermute_b32 v123, v63, v66
	v_cndmask_b32_e64 v63, -v65, v65, s19
	s_waitcnt lgkmcnt(0)
	v_add_f32_e32 v61, v45, v121
	v_cndmask_b32_e64 v45, -v64, v64, s19
	v_cndmask_b32_e64 v64, -v66, v66, s19
	ds_bpermute_b32 v35, v37, v149
	ds_bpermute_b32 v40, v37, v152
	;; [unrolled: 1-line block ×6, first 2 shown]
	s_barrier
	s_waitcnt lgkmcnt(0)
	buffer_gl0_inv
	v_add_f32_e32 v62, v45, v47
	ds_read_b128 v[65:68], v96
	ds_read_b128 v[69:72], v96 offset:4096
	ds_read_b128 v[73:76], v96 offset:8192
	;; [unrolled: 1-line block ×7, first 2 shown]
	s_waitcnt lgkmcnt(0)
	s_barrier
	buffer_gl0_inv
	ds_write_b128 v124, v[91:94]
	ds_write_b128 v124, v[97:100] offset:4096
	ds_write_b128 v124, v[101:104] offset:8192
	;; [unrolled: 1-line block ×7, first 2 shown]
	v_cndmask_b32_e64 v41, -v149, v149, s5
	v_cndmask_b32_e64 v44, -v152, v152, s5
	ds_bpermute_b32 v45, v37, v153
	ds_bpermute_b32 v46, v37, v154
	;; [unrolled: 1-line block ×5, first 2 shown]
	v_cndmask_b32_e64 v33, -v147, v147, s5
	v_add_f32_e32 v90, v41, v35
	v_add_f32_e32 v35, v44, v40
	ds_bpermute_b32 v44, v37, v159
	ds_bpermute_b32 v52, v37, v161
	v_add_f32_e32 v32, v33, v32
	v_cndmask_b32_e64 v33, -v148, v148, s5
	v_cndmask_b32_e64 v42, -v150, v150, s5
	;; [unrolled: 1-line block ×3, first 2 shown]
	s_waitcnt lgkmcnt(0)
	s_barrier
	buffer_gl0_inv
	ds_read_b128 v[114:117], v96
	ds_read_b128 v[118:121], v96 offset:4096
	ds_read_b128 v[187:190], v96 offset:8192
	ds_read_b128 v[191:194], v96 offset:12288
	ds_read_b128 v[195:198], v96 offset:16384
	ds_read_b128 v[199:202], v96 offset:20480
	ds_read_b128 v[28:31], v96 offset:24576
	ds_read_b128 v[24:27], v96 offset:28672
	s_waitcnt lgkmcnt(0)
	s_barrier
	buffer_gl0_inv
	ds_write_b128 v124, v[134:137]
	ds_write_b128 v124, v[125:128] offset:4096
	ds_write_b128 v124, v[129:132] offset:8192
	;; [unrolled: 1-line block ×5, first 2 shown]
	v_add_f32_e32 v89, v33, v34
	v_add_f32_e32 v33, v42, v36
	;; [unrolled: 1-line block ×3, first 2 shown]
	v_cndmask_b32_e64 v36, -v153, v153, s5
	v_cndmask_b32_e64 v39, -v154, v154, s5
	;; [unrolled: 1-line block ×5, first 2 shown]
	ds_bpermute_b32 v43, v37, v158
	ds_bpermute_b32 v51, v37, v160
	;; [unrolled: 1-line block ×3, first 2 shown]
	v_add_f32_e32 v91, v36, v45
	v_add_f32_e32 v92, v39, v46
	;; [unrolled: 1-line block ×5, first 2 shown]
	v_cndmask_b32_e64 v42, -v159, v159, s5
	v_cndmask_b32_e64 v46, -v161, v161, s5
	ds_bpermute_b32 v49, v37, v163
	ds_bpermute_b32 v50, v37, v164
	;; [unrolled: 1-line block ×5, first 2 shown]
	v_add_f32_e32 v94, v42, v44
	v_add_f32_e32 v42, v46, v52
	ds_bpermute_b32 v52, v37, v168
	ds_bpermute_b32 v57, v37, v170
	;; [unrolled: 1-line block ×3, first 2 shown]
	v_cndmask_b32_e64 v41, -v158, v158, s5
	v_cndmask_b32_e64 v45, -v160, v160, s5
	;; [unrolled: 1-line block ×5, first 2 shown]
	s_waitcnt lgkmcnt(10)
	v_add_f32_e32 v93, v41, v43
	s_waitcnt lgkmcnt(9)
	v_add_f32_e32 v41, v45, v51
	;; [unrolled: 2-line block ×3, first 2 shown]
	v_cndmask_b32_e64 v45, -v164, v164, s5
	v_cndmask_b32_e64 v47, -v166, v166, s5
	;; [unrolled: 1-line block ×3, first 2 shown]
	ds_bpermute_b32 v53, v37, v169
	ds_bpermute_b32 v58, v37, v171
	v_add_f32_e32 v63, v63, v122
	v_add_f32_e32 v64, v64, v123
	ds_write_b128 v124, v[142:145] offset:24576
	ds_write_b128 v124, v[61:64] offset:28672
	s_waitcnt lgkmcnt(11)
	v_add_f32_e32 v95, v44, v49
	s_waitcnt lgkmcnt(10)
	v_add_f32_e32 v97, v45, v50
	;; [unrolled: 2-line block ×5, first 2 shown]
	v_cndmask_b32_e64 v47, -v168, v168, s5
	v_cndmask_b32_e64 v50, -v170, v170, s5
	;; [unrolled: 1-line block ×3, first 2 shown]
	ds_bpermute_b32 v55, v37, v173
	ds_bpermute_b32 v56, v37, v174
	;; [unrolled: 1-line block ×5, first 2 shown]
	s_waitcnt lgkmcnt(11)
	v_add_f32_e32 v98, v47, v52
	s_waitcnt lgkmcnt(10)
	v_add_f32_e32 v47, v50, v57
	;; [unrolled: 2-line block ×3, first 2 shown]
	ds_bpermute_b32 v59, v37, v65
	ds_bpermute_b32 v64, v37, v67
	v_cndmask_b32_e64 v49, -v169, v169, s5
	v_cndmask_b32_e64 v51, -v171, v171, s5
	;; [unrolled: 1-line block ×5, first 2 shown]
	s_waitcnt lgkmcnt(10)
	v_add_f32_e32 v99, v49, v53
	s_waitcnt lgkmcnt(9)
	v_add_f32_e32 v49, v51, v58
	v_cndmask_b32_e64 v51, -v173, v173, s5
	v_cndmask_b32_e64 v53, -v175, v175, s5
	ds_bpermute_b32 v58, v37, v178
	ds_bpermute_b32 v63, v37, v66
	;; [unrolled: 1-line block ×3, first 2 shown]
	s_waitcnt lgkmcnt(9)
	v_add_f32_e32 v100, v51, v55
	s_waitcnt lgkmcnt(8)
	v_add_f32_e32 v101, v52, v56
	;; [unrolled: 2-line block ×5, first 2 shown]
	v_cndmask_b32_e64 v55, -v65, v65, s5
	v_cndmask_b32_e64 v56, -v66, v66, s5
	;; [unrolled: 1-line block ×3, first 2 shown]
	ds_bpermute_b32 v61, v37, v69
	ds_bpermute_b32 v62, v37, v70
	;; [unrolled: 1-line block ×5, first 2 shown]
	s_waitcnt lgkmcnt(9)
	v_add_f32_e32 v103, v55, v59
	s_waitcnt lgkmcnt(8)
	v_add_f32_e32 v55, v57, v64
	v_cndmask_b32_e64 v57, -v69, v69, s5
	v_cndmask_b32_e64 v59, -v71, v71, s5
	ds_bpermute_b32 v64, v37, v74
	ds_bpermute_b32 v69, v37, v76
	ds_bpermute_b32 v71, v37, v78
	v_cndmask_b32_e64 v54, -v178, v178, s5
	v_cndmask_b32_e64 v60, -v68, v68, s5
	ds_bpermute_b32 v68, v37, v75
	ds_bpermute_b32 v122, v37, v193
	ds_bpermute_b32 v123, v37, v194
	s_waitcnt lgkmcnt(13)
	v_add_f32_e32 v102, v54, v58
	s_waitcnt lgkmcnt(12)
	v_add_f32_e32 v54, v56, v63
	;; [unrolled: 2-line block ×3, first 2 shown]
	v_cndmask_b32_e64 v58, -v70, v70, s5
	v_cndmask_b32_e64 v60, -v72, v72, s5
	;; [unrolled: 1-line block ×3, first 2 shown]
	ds_bpermute_b32 v70, v37, v77
	s_waitcnt lgkmcnt(11)
	v_add_f32_e32 v104, v57, v61
	s_waitcnt lgkmcnt(10)
	v_add_f32_e32 v105, v58, v62
	;; [unrolled: 2-line block ×5, first 2 shown]
	v_cndmask_b32_e64 v60, -v74, v74, s5
	v_cndmask_b32_e64 v62, -v76, v76, s5
	;; [unrolled: 1-line block ×3, first 2 shown]
	ds_bpermute_b32 v66, v37, v79
	ds_bpermute_b32 v67, v37, v80
	;; [unrolled: 1-line block ×5, first 2 shown]
	s_waitcnt lgkmcnt(11)
	v_add_f32_e32 v106, v60, v64
	s_waitcnt lgkmcnt(10)
	v_add_f32_e32 v60, v62, v69
	;; [unrolled: 2-line block ×3, first 2 shown]
	ds_bpermute_b32 v71, v37, v85
	ds_bpermute_b32 v76, v37, v87
	v_cndmask_b32_e64 v61, -v75, v75, s5
	v_cndmask_b32_e64 v63, -v77, v77, s5
	;; [unrolled: 1-line block ×5, first 2 shown]
	s_waitcnt lgkmcnt(10)
	v_add_f32_e32 v107, v61, v68
	s_waitcnt lgkmcnt(7)
	v_add_f32_e32 v61, v63, v70
	v_cndmask_b32_e64 v63, -v79, v79, s5
	v_cndmask_b32_e64 v68, -v82, v82, s5
	ds_bpermute_b32 v70, v37, v84
	ds_bpermute_b32 v75, v37, v86
	;; [unrolled: 1-line block ×3, first 2 shown]
	s_waitcnt lgkmcnt(9)
	v_add_f32_e32 v108, v63, v66
	s_waitcnt lgkmcnt(8)
	v_add_f32_e32 v109, v64, v67
	;; [unrolled: 2-line block ×5, first 2 shown]
	v_cndmask_b32_e64 v67, -v85, v85, s5
	v_cndmask_b32_e64 v69, -v87, v87, s5
	ds_bpermute_b32 v73, v37, v179
	ds_bpermute_b32 v74, v37, v180
	;; [unrolled: 1-line block ×5, first 2 shown]
	s_waitcnt lgkmcnt(9)
	v_add_f32_e32 v111, v67, v71
	s_waitcnt lgkmcnt(8)
	v_add_f32_e32 v67, v69, v76
	ds_bpermute_b32 v76, v37, v184
	ds_bpermute_b32 v81, v37, v186
	;; [unrolled: 1-line block ×3, first 2 shown]
	v_cndmask_b32_e64 v66, -v84, v84, s5
	v_cndmask_b32_e64 v68, -v86, v86, s5
	;; [unrolled: 1-line block ×5, first 2 shown]
	s_waitcnt lgkmcnt(10)
	v_add_f32_e32 v110, v66, v70
	s_waitcnt lgkmcnt(9)
	v_add_f32_e32 v66, v68, v75
	;; [unrolled: 2-line block ×3, first 2 shown]
	v_cndmask_b32_e64 v70, -v180, v180, s5
	v_cndmask_b32_e64 v72, -v182, v182, s5
	;; [unrolled: 1-line block ×3, first 2 shown]
	ds_bpermute_b32 v77, v37, v185
	ds_bpermute_b32 v82, v37, v114
	s_waitcnt lgkmcnt(9)
	v_add_f32_e32 v112, v69, v73
	s_waitcnt lgkmcnt(8)
	v_add_f32_e32 v113, v70, v74
	;; [unrolled: 2-line block ×5, first 2 shown]
	v_cndmask_b32_e64 v72, -v184, v184, s5
	v_cndmask_b32_e64 v74, -v186, v186, s5
	;; [unrolled: 1-line block ×3, first 2 shown]
	ds_bpermute_b32 v79, v37, v116
	ds_bpermute_b32 v80, v37, v117
	;; [unrolled: 1-line block ×5, first 2 shown]
	v_cndmask_b32_e64 v75, -v114, v114, s5
	s_waitcnt lgkmcnt(9)
	v_add_f32_e32 v114, v72, v76
	s_waitcnt lgkmcnt(8)
	v_add_f32_e32 v72, v74, v81
	;; [unrolled: 2-line block ×3, first 2 shown]
	ds_bpermute_b32 v83, v37, v187
	ds_bpermute_b32 v88, v37, v189
	v_cndmask_b32_e64 v73, -v185, v185, s5
	v_cndmask_b32_e64 v76, -v117, v117, s5
	;; [unrolled: 1-line block ×4, first 2 shown]
	ds_bpermute_b32 v87, v37, v188
	s_waitcnt lgkmcnt(9)
	v_add_f32_e32 v115, v73, v77
	s_waitcnt lgkmcnt(8)
	v_add_f32_e32 v73, v75, v82
	v_cndmask_b32_e64 v75, -v116, v116, s5
	v_cndmask_b32_e64 v77, -v118, v118, s5
	ds_bpermute_b32 v82, v37, v121
	ds_bpermute_b32 v120, v37, v190
	s_waitcnt lgkmcnt(8)
	v_add_f32_e32 v117, v76, v80
	v_add_f32_e32 v116, v75, v79
	s_waitcnt lgkmcnt(7)
	v_add_f32_e32 v75, v77, v84
	s_waitcnt lgkmcnt(6)
	;; [unrolled: 2-line block ×3, first 2 shown]
	v_add_f32_e32 v77, v81, v86
	v_cndmask_b32_e64 v79, -v187, v187, s5
	v_cndmask_b32_e64 v81, -v189, v189, s5
	ds_bpermute_b32 v85, v37, v191
	ds_bpermute_b32 v86, v37, v192
	;; [unrolled: 1-line block ×3, first 2 shown]
	s_waitcnt lgkmcnt(7)
	v_add_f32_e32 v119, v79, v83
	s_waitcnt lgkmcnt(6)
	v_add_f32_e32 v79, v81, v88
	ds_bpermute_b32 v88, v37, v196
	ds_bpermute_b32 v126, v37, v197
	;; [unrolled: 1-line block ×4, first 2 shown]
	v_cndmask_b32_e64 v78, -v121, v121, s5
	v_cndmask_b32_e64 v80, -v188, v188, s5
	;; [unrolled: 1-line block ×3, first 2 shown]
	ds_bpermute_b32 v129, v37, v200
	ds_bpermute_b32 v138, v37, v201
	;; [unrolled: 1-line block ×3, first 2 shown]
	s_waitcnt lgkmcnt(0)
	s_barrier
	buffer_gl0_inv
	ds_read_b128 v[130:133], v96
	ds_read_b128 v[134:137], v96 offset:4096
	ds_read_b128 v[20:23], v96 offset:8192
	;; [unrolled: 1-line block ×3, first 2 shown]
	v_add_f32_e32 v118, v78, v82
	v_add_f32_e32 v78, v80, v87
	;; [unrolled: 1-line block ×3, first 2 shown]
	v_cndmask_b32_e64 v81, -v191, v191, s5
	v_cndmask_b32_e64 v82, -v192, v192, s5
	;; [unrolled: 1-line block ×5, first 2 shown]
	v_add_f32_e32 v120, v81, v85
	v_add_f32_e32 v121, v82, v86
	;; [unrolled: 1-line block ×5, first 2 shown]
	v_cndmask_b32_e64 v84, -v196, v196, s5
	v_cndmask_b32_e64 v85, -v197, v197, s5
	;; [unrolled: 1-line block ×4, first 2 shown]
	ds_bpermute_b32 v140, v37, v28
	v_cndmask_b32_e64 v125, -v200, v200, s5
	ds_bpermute_b32 v141, v37, v29
	ds_bpermute_b32 v142, v37, v30
	v_add_f32_e32 v122, v84, v88
	v_add_f32_e32 v123, v85, v126
	;; [unrolled: 1-line block ×4, first 2 shown]
	v_cndmask_b32_e64 v87, -v201, v201, s5
	v_cndmask_b32_e64 v88, -v202, v202, s5
	ds_bpermute_b32 v127, v37, v31
	ds_bpermute_b32 v128, v37, v24
	;; [unrolled: 1-line block ×5, first 2 shown]
	v_add_f32_e32 v86, v125, v129
	v_add_f32_e32 v125, v87, v138
	;; [unrolled: 1-line block ×3, first 2 shown]
	s_waitcnt lgkmcnt(11)
	ds_bpermute_b32 v87, v37, v130
	ds_bpermute_b32 v88, v37, v131
	ds_bpermute_b32 v138, v37, v132
	ds_bpermute_b32 v139, v37, v133
	v_cndmask_b32_e64 v28, -v28, v28, s5
	v_cndmask_b32_e64 v29, -v29, v29, s5
	;; [unrolled: 1-line block ×5, first 2 shown]
	s_waitcnt lgkmcnt(11)
	v_add_f32_e32 v28, v28, v140
	v_cndmask_b32_e64 v25, -v25, v25, s5
	v_cndmask_b32_e64 v26, -v26, v26, s5
	;; [unrolled: 1-line block ×3, first 2 shown]
	ds_bpermute_b32 v140, v37, v134
	s_waitcnt lgkmcnt(11)
	v_add_f32_e32 v29, v29, v141
	s_waitcnt lgkmcnt(10)
	v_add_f32_e32 v30, v30, v142
	;; [unrolled: 2-line block ×7, first 2 shown]
	v_cndmask_b32_e64 v27, -v130, v130, s5
	v_cndmask_b32_e64 v31, -v131, v131, s5
	;; [unrolled: 1-line block ×5, first 2 shown]
	ds_bpermute_b32 v134, v37, v135
	ds_bpermute_b32 v141, v37, v136
	;; [unrolled: 1-line block ×5, first 2 shown]
	ds_read_b128 v[16:19], v96 offset:16384
	ds_read_b128 v[8:11], v96 offset:20480
	;; [unrolled: 1-line block ×4, first 2 shown]
	s_waitcnt lgkmcnt(13)
	v_add_f32_e32 v131, v27, v87
	s_waitcnt lgkmcnt(12)
	v_add_f32_e32 v133, v31, v88
	;; [unrolled: 2-line block ×4, first 2 shown]
	v_cndmask_b32_e64 v128, -v136, v136, s5
	v_cndmask_b32_e64 v130, -v137, v137, s5
	ds_bpermute_b32 v136, v37, v22
	ds_bpermute_b32 v137, v37, v23
	s_waitcnt lgkmcnt(11)
	v_add_f32_e32 v87, v132, v140
	v_cndmask_b32_e64 v88, -v135, v135, s5
	v_cndmask_b32_e64 v132, -v20, v20, s5
	;; [unrolled: 1-line block ×3, first 2 shown]
	ds_bpermute_b32 v138, v37, v12
	v_cndmask_b32_e64 v22, -v22, v22, s5
	s_waitcnt lgkmcnt(11)
	v_add_f32_e32 v147, v88, v134
	s_waitcnt lgkmcnt(10)
	v_add_f32_e32 v148, v128, v141
	;; [unrolled: 2-line block ×5, first 2 shown]
	v_cndmask_b32_e64 v23, -v23, v23, s5
	ds_bpermute_b32 v128, v37, v15
	s_waitcnt lgkmcnt(7)
	ds_bpermute_b32 v130, v37, v16
	ds_bpermute_b32 v132, v37, v17
	ds_bpermute_b32 v134, v37, v18
	ds_bpermute_b32 v135, v37, v19
	v_cndmask_b32_e64 v12, -v12, v12, s5
	s_waitcnt lgkmcnt(7)
	v_add_f32_e32 v149, v22, v136
	s_waitcnt lgkmcnt(6)
	v_add_f32_e32 v150, v23, v137
	ds_bpermute_b32 v22, v37, v8
	ds_bpermute_b32 v23, v37, v9
	v_cndmask_b32_e64 v15, -v15, v15, s5
	v_cndmask_b32_e64 v16, -v16, v16, s5
	s_waitcnt lgkmcnt(7)
	v_add_f32_e32 v12, v12, v138
	v_cndmask_b32_e64 v17, -v17, v17, s5
	v_cndmask_b32_e64 v18, -v18, v18, s5
	;; [unrolled: 1-line block ×3, first 2 shown]
	ds_bpermute_b32 v136, v37, v10
	ds_bpermute_b32 v137, v37, v11
	;; [unrolled: 1-line block ×3, first 2 shown]
	v_cndmask_b32_e64 v8, -v8, v8, s5
	s_waitcnt lgkmcnt(9)
	v_add_f32_e32 v151, v15, v128
	s_waitcnt lgkmcnt(8)
	v_add_f32_e32 v152, v16, v130
	;; [unrolled: 2-line block ×5, first 2 shown]
	v_cndmask_b32_e64 v9, -v9, v9, s5
	ds_bpermute_b32 v19, v37, v5
	ds_bpermute_b32 v128, v37, v6
	;; [unrolled: 1-line block ×5, first 2 shown]
	s_waitcnt lgkmcnt(9)
	v_add_f32_e32 v153, v8, v22
	s_waitcnt lgkmcnt(8)
	v_add_f32_e32 v154, v9, v23
	ds_bpermute_b32 v22, v37, v2
	ds_bpermute_b32 v23, v37, v3
	v_cndmask_b32_e64 v10, -v10, v10, s5
	v_cndmask_b32_e64 v11, -v11, v11, s5
	v_cndmask_b32_e64 v18, -v4, v4, s5
	ds_bpermute_b32 v139, v37, v13
	ds_bpermute_b32 v140, v37, v14
	s_waitcnt lgkmcnt(11)
	v_add_f32_e32 v4, v10, v136
	s_waitcnt lgkmcnt(10)
	v_add_f32_e32 v8, v11, v137
	s_waitcnt lgkmcnt(9)
	v_add_f32_e32 v9, v18, v138
	v_cndmask_b32_e64 v5, -v5, v5, s5
	v_cndmask_b32_e64 v6, -v6, v6, s5
	;; [unrolled: 1-line block ×5, first 2 shown]
	ds_bpermute_b32 v37, v38, v32
	ds_bpermute_b32 v135, v38, v89
	;; [unrolled: 1-line block ×3, first 2 shown]
	s_waitcnt lgkmcnt(11)
	v_add_f32_e32 v7, v5, v19
	s_waitcnt lgkmcnt(10)
	v_add_f32_e32 v155, v6, v128
	;; [unrolled: 2-line block ×5, first 2 shown]
	v_cndmask_b32_e64 v2, -v2, v2, s5
	v_cndmask_b32_e64 v3, -v3, v3, s5
	;; [unrolled: 1-line block ×5, first 2 shown]
	ds_bpermute_b32 v18, v38, v33
	ds_bpermute_b32 v19, v38, v34
	;; [unrolled: 1-line block ×5, first 2 shown]
	s_waitcnt lgkmcnt(11)
	v_add_f32_e32 v156, v2, v22
	s_waitcnt lgkmcnt(10)
	v_add_f32_e32 v157, v3, v23
	v_cndmask_b32_e64 v22, -v35, v35, s18
	v_cndmask_b32_e64 v23, -v91, v91, s18
	ds_bpermute_b32 v35, v38, v39
	ds_bpermute_b32 v91, v38, v93
	s_waitcnt lgkmcnt(9)
	v_add_f32_e32 v2, v6, v37
	s_waitcnt lgkmcnt(8)
	v_add_f32_e32 v3, v10, v135
	;; [unrolled: 2-line block ×3, first 2 shown]
	v_cndmask_b32_e64 v10, -v33, v33, s18
	v_cndmask_b32_e64 v11, -v34, v34, s18
	;; [unrolled: 1-line block ×3, first 2 shown]
	ds_bpermute_b32 v34, v38, v36
	ds_bpermute_b32 v37, v38, v40
	;; [unrolled: 1-line block ×3, first 2 shown]
	s_waitcnt lgkmcnt(9)
	v_add_f32_e32 v158, v10, v18
	s_waitcnt lgkmcnt(8)
	v_add_f32_e32 v159, v11, v19
	s_waitcnt lgkmcnt(7)
	v_add_f32_e32 v10, v22, v32
	s_waitcnt lgkmcnt(6)
	v_add_f32_e32 v11, v23, v89
	s_waitcnt lgkmcnt(5)
	v_add_f32_e32 v18, v33, v90
	v_cndmask_b32_e64 v19, -v36, v36, s18
	v_cndmask_b32_e64 v22, -v39, v39, s18
	;; [unrolled: 1-line block ×3, first 2 shown]
	ds_bpermute_b32 v36, v38, v41
	ds_bpermute_b32 v39, v38, v42
	;; [unrolled: 1-line block ×5, first 2 shown]
	v_cndmask_b32_e64 v33, -v94, v94, s18
	s_waitcnt lgkmcnt(9)
	v_add_f32_e32 v160, v22, v35
	s_waitcnt lgkmcnt(8)
	v_add_f32_e32 v22, v32, v91
	ds_bpermute_b32 v91, v38, v45
	ds_bpermute_b32 v94, v38, v98
	v_cndmask_b32_e64 v23, -v40, v40, s18
	s_waitcnt lgkmcnt(9)
	v_add_f32_e32 v40, v19, v34
	v_cndmask_b32_e64 v32, -v41, v41, s18
	v_cndmask_b32_e64 v34, -v43, v43, s18
	;; [unrolled: 1-line block ×3, first 2 shown]
	s_waitcnt lgkmcnt(8)
	v_add_f32_e32 v19, v23, v37
	s_waitcnt lgkmcnt(7)
	v_add_f32_e32 v23, v33, v92
	v_cndmask_b32_e64 v33, -v42, v42, s18
	v_cndmask_b32_e64 v37, -v97, v97, s18
	ds_bpermute_b32 v43, v38, v44
	ds_bpermute_b32 v92, v38, v46
	;; [unrolled: 1-line block ×3, first 2 shown]
	s_waitcnt lgkmcnt(9)
	v_add_f32_e32 v41, v32, v36
	s_waitcnt lgkmcnt(8)
	v_add_f32_e32 v42, v33, v39
	;; [unrolled: 2-line block ×5, first 2 shown]
	v_cndmask_b32_e64 v36, -v45, v45, s18
	v_cndmask_b32_e64 v37, -v46, v46, s18
	;; [unrolled: 1-line block ×3, first 2 shown]
	ds_bpermute_b32 v45, v38, v47
	ds_bpermute_b32 v46, v38, v49
	;; [unrolled: 1-line block ×5, first 2 shown]
	s_waitcnt lgkmcnt(9)
	v_add_f32_e32 v161, v36, v91
	s_waitcnt lgkmcnt(8)
	v_add_f32_e32 v36, v39, v94
	ds_bpermute_b32 v91, v38, v51
	ds_bpermute_b32 v94, v38, v53
	;; [unrolled: 1-line block ×3, first 2 shown]
	v_cndmask_b32_e64 v35, -v44, v44, s18
	v_cndmask_b32_e64 v44, -v99, v99, s18
	;; [unrolled: 1-line block ×5, first 2 shown]
	s_waitcnt lgkmcnt(10)
	v_add_f32_e32 v43, v35, v43
	s_waitcnt lgkmcnt(9)
	v_add_f32_e32 v35, v37, v92
	;; [unrolled: 2-line block ×3, first 2 shown]
	v_cndmask_b32_e64 v44, -v49, v49, s18
	v_cndmask_b32_e64 v49, -v100, v100, s18
	ds_bpermute_b32 v92, v38, v52
	ds_bpermute_b32 v95, v38, v102
	s_waitcnt lgkmcnt(9)
	v_add_f32_e32 v162, v39, v45
	s_waitcnt lgkmcnt(8)
	v_add_f32_e32 v163, v44, v46
	;; [unrolled: 2-line block ×5, first 2 shown]
	v_cndmask_b32_e64 v46, -v51, v51, s18
	v_cndmask_b32_e64 v47, -v52, v52, s18
	;; [unrolled: 1-line block ×4, first 2 shown]
	ds_bpermute_b32 v52, v38, v54
	ds_bpermute_b32 v53, v38, v55
	;; [unrolled: 1-line block ×4, first 2 shown]
	s_waitcnt lgkmcnt(8)
	v_add_f32_e32 v164, v46, v91
	s_waitcnt lgkmcnt(7)
	v_add_f32_e32 v46, v49, v94
	s_waitcnt lgkmcnt(6)
	v_add_f32_e32 v89, v51, v97
	ds_bpermute_b32 v94, v38, v58
	ds_bpermute_b32 v97, v38, v106
	v_cndmask_b32_e64 v50, -v102, v102, s18
	ds_bpermute_b32 v90, v38, v56
	s_waitcnt lgkmcnt(8)
	v_add_f32_e32 v165, v47, v92
	v_cndmask_b32_e64 v49, -v54, v54, s18
	v_cndmask_b32_e64 v51, -v56, v56, s18
	s_waitcnt lgkmcnt(7)
	v_add_f32_e32 v47, v50, v95
	v_cndmask_b32_e64 v50, -v55, v55, s18
	v_cndmask_b32_e64 v54, -v104, v104, s18
	;; [unrolled: 1-line block ×3, first 2 shown]
	ds_bpermute_b32 v56, v38, v57
	ds_bpermute_b32 v95, v38, v59
	;; [unrolled: 1-line block ×3, first 2 shown]
	s_waitcnt lgkmcnt(9)
	v_add_f32_e32 v166, v49, v52
	s_waitcnt lgkmcnt(8)
	v_add_f32_e32 v167, v50, v53
	;; [unrolled: 2-line block ×4, first 2 shown]
	v_cndmask_b32_e64 v50, -v58, v58, s18
	v_cndmask_b32_e64 v52, -v106, v106, s18
	ds_bpermute_b32 v54, v38, v60
	ds_bpermute_b32 v55, v38, v61
	;; [unrolled: 1-line block ×5, first 2 shown]
	s_waitcnt lgkmcnt(10)
	v_add_f32_e32 v169, v50, v94
	s_waitcnt lgkmcnt(9)
	v_add_f32_e32 v58, v52, v97
	ds_bpermute_b32 v94, v38, v64
	ds_bpermute_b32 v97, v38, v110
	s_waitcnt lgkmcnt(10)
	v_add_f32_e32 v90, v51, v90
	v_cndmask_b32_e64 v49, -v57, v57, s18
	v_cndmask_b32_e64 v51, -v59, v59, s18
	v_cndmask_b32_e64 v53, -v107, v107, s18
	v_cndmask_b32_e64 v50, -v61, v61, s18
	v_cndmask_b32_e64 v52, -v108, v108, s18
	s_waitcnt lgkmcnt(9)
	v_add_f32_e32 v168, v49, v56
	s_waitcnt lgkmcnt(8)
	v_add_f32_e32 v57, v51, v95
	;; [unrolled: 2-line block ×3, first 2 shown]
	v_cndmask_b32_e64 v49, -v60, v60, s18
	v_cndmask_b32_e64 v51, -v62, v62, s18
	ds_bpermute_b32 v56, v38, v63
	ds_bpermute_b32 v95, v38, v65
	;; [unrolled: 1-line block ×3, first 2 shown]
	v_cndmask_b32_e64 v53, -v109, v109, s18
	s_waitcnt lgkmcnt(9)
	v_add_f32_e32 v170, v49, v54
	s_waitcnt lgkmcnt(8)
	v_add_f32_e32 v171, v50, v55
	;; [unrolled: 2-line block ×4, first 2 shown]
	v_cndmask_b32_e64 v50, -v64, v64, s18
	v_cndmask_b32_e64 v52, -v110, v110, s18
	ds_bpermute_b32 v54, v38, v66
	ds_bpermute_b32 v55, v38, v67
	;; [unrolled: 1-line block ×4, first 2 shown]
	s_waitcnt lgkmcnt(9)
	v_add_f32_e32 v62, v53, v100
	ds_bpermute_b32 v100, v38, v113
	s_waitcnt lgkmcnt(9)
	v_add_f32_e32 v173, v50, v94
	s_waitcnt lgkmcnt(8)
	v_add_f32_e32 v64, v52, v97
	ds_bpermute_b32 v94, v38, v70
	ds_bpermute_b32 v97, v38, v114
	v_cndmask_b32_e64 v49, -v63, v63, s18
	v_cndmask_b32_e64 v51, -v65, v65, s18
	v_cndmask_b32_e64 v53, -v111, v111, s18
	v_cndmask_b32_e64 v50, -v67, v67, s18
	v_cndmask_b32_e64 v52, -v112, v112, s18
	s_waitcnt lgkmcnt(9)
	v_add_f32_e32 v172, v49, v56
	s_waitcnt lgkmcnt(8)
	v_add_f32_e32 v63, v51, v95
	;; [unrolled: 2-line block ×3, first 2 shown]
	v_cndmask_b32_e64 v49, -v66, v66, s18
	v_cndmask_b32_e64 v51, -v68, v68, s18
	ds_bpermute_b32 v56, v38, v69
	ds_bpermute_b32 v95, v38, v71
	;; [unrolled: 1-line block ×3, first 2 shown]
	v_cndmask_b32_e64 v53, -v113, v113, s18
	s_waitcnt lgkmcnt(9)
	v_add_f32_e32 v112, v49, v54
	s_waitcnt lgkmcnt(8)
	v_add_f32_e32 v113, v50, v55
	;; [unrolled: 2-line block ×4, first 2 shown]
	v_cndmask_b32_e64 v50, -v70, v70, s18
	v_cndmask_b32_e64 v52, -v114, v114, s18
	ds_bpermute_b32 v54, v38, v72
	ds_bpermute_b32 v55, v38, v73
	ds_bpermute_b32 v93, v38, v74
	ds_bpermute_b32 v98, v38, v116
	s_waitcnt lgkmcnt(9)
	v_add_f32_e32 v68, v53, v100
	v_cndmask_b32_e64 v53, -v115, v115, s18
	ds_bpermute_b32 v100, v38, v117
	s_waitcnt lgkmcnt(9)
	v_add_f32_e32 v115, v50, v94
	s_waitcnt lgkmcnt(8)
	v_add_f32_e32 v70, v52, v97
	ds_bpermute_b32 v94, v38, v76
	ds_bpermute_b32 v97, v38, v118
	v_cndmask_b32_e64 v49, -v69, v69, s18
	v_cndmask_b32_e64 v51, -v71, v71, s18
	s_waitcnt lgkmcnt(7)
	v_add_f32_e32 v71, v53, v99
	v_cndmask_b32_e64 v50, -v73, v73, s18
	v_cndmask_b32_e64 v52, -v116, v116, s18
	v_add_f32_e32 v114, v49, v56
	v_add_f32_e32 v69, v51, v95
	v_cndmask_b32_e64 v49, -v72, v72, s18
	v_cndmask_b32_e64 v51, -v74, v74, s18
	ds_bpermute_b32 v56, v38, v75
	ds_bpermute_b32 v95, v38, v77
	;; [unrolled: 1-line block ×3, first 2 shown]
	v_cndmask_b32_e64 v53, -v117, v117, s18
	s_waitcnt lgkmcnt(9)
	v_add_f32_e32 v116, v49, v54
	s_waitcnt lgkmcnt(8)
	v_add_f32_e32 v117, v50, v55
	;; [unrolled: 2-line block ×4, first 2 shown]
	v_cndmask_b32_e64 v50, -v76, v76, s18
	v_cndmask_b32_e64 v52, -v118, v118, s18
	ds_bpermute_b32 v54, v38, v78
	ds_bpermute_b32 v55, v38, v79
	;; [unrolled: 1-line block ×4, first 2 shown]
	s_waitcnt lgkmcnt(9)
	v_add_f32_e32 v74, v53, v100
	v_cndmask_b32_e64 v53, -v119, v119, s18
	ds_bpermute_b32 v100, v38, v121
	s_waitcnt lgkmcnt(9)
	v_add_f32_e32 v119, v50, v94
	s_waitcnt lgkmcnt(8)
	v_add_f32_e32 v76, v52, v97
	ds_bpermute_b32 v94, v38, v82
	ds_bpermute_b32 v97, v38, v122
	v_cndmask_b32_e64 v49, -v75, v75, s18
	v_cndmask_b32_e64 v51, -v77, v77, s18
	s_waitcnt lgkmcnt(7)
	v_add_f32_e32 v77, v53, v99
	v_cndmask_b32_e64 v50, -v79, v79, s18
	v_cndmask_b32_e64 v52, -v120, v120, s18
	v_add_f32_e32 v118, v49, v56
	v_add_f32_e32 v75, v51, v95
	v_cndmask_b32_e64 v49, -v78, v78, s18
	v_cndmask_b32_e64 v51, -v80, v80, s18
	ds_bpermute_b32 v56, v38, v81
	ds_bpermute_b32 v95, v38, v83
	;; [unrolled: 1-line block ×3, first 2 shown]
	v_cndmask_b32_e64 v53, -v121, v121, s18
	s_waitcnt lgkmcnt(9)
	v_add_f32_e32 v120, v49, v54
	s_waitcnt lgkmcnt(8)
	v_add_f32_e32 v121, v50, v55
	;; [unrolled: 2-line block ×4, first 2 shown]
	v_cndmask_b32_e64 v50, -v82, v82, s18
	v_cndmask_b32_e64 v52, -v122, v122, s18
	ds_bpermute_b32 v54, v38, v84
	ds_bpermute_b32 v55, v38, v85
	;; [unrolled: 1-line block ×4, first 2 shown]
	s_waitcnt lgkmcnt(9)
	v_add_f32_e32 v80, v53, v100
	v_cndmask_b32_e64 v53, -v123, v123, s18
	s_waitcnt lgkmcnt(8)
	v_add_f32_e32 v123, v50, v94
	s_waitcnt lgkmcnt(7)
	v_add_f32_e32 v82, v52, v97
	ds_bpermute_b32 v94, v38, v29
	ds_bpermute_b32 v97, v38, v127
	v_cndmask_b32_e64 v49, -v81, v81, s18
	v_cndmask_b32_e64 v51, -v83, v83, s18
	ds_bpermute_b32 v100, v38, v126
	s_waitcnt lgkmcnt(7)
	v_add_f32_e32 v83, v53, v99
	v_cndmask_b32_e64 v50, -v85, v85, s18
	v_add_f32_e32 v122, v49, v56
	v_add_f32_e32 v81, v51, v95
	v_cndmask_b32_e64 v49, -v84, v84, s18
	v_cndmask_b32_e64 v51, -v86, v86, s18
	;; [unrolled: 1-line block ×3, first 2 shown]
	ds_bpermute_b32 v56, v38, v28
	ds_bpermute_b32 v95, v38, v30
	;; [unrolled: 1-line block ×3, first 2 shown]
	v_cndmask_b32_e64 v53, -v126, v126, s18
	s_waitcnt lgkmcnt(9)
	v_add_f32_e32 v125, v49, v54
	s_waitcnt lgkmcnt(8)
	v_add_f32_e32 v126, v50, v55
	;; [unrolled: 2-line block ×4, first 2 shown]
	v_cndmask_b32_e64 v29, -v29, v29, s18
	v_cndmask_b32_e64 v49, -v127, v127, s18
	ds_bpermute_b32 v51, v38, v24
	ds_bpermute_b32 v52, v38, v25
	;; [unrolled: 1-line block ×4, first 2 shown]
	v_cndmask_b32_e64 v50, -v129, v129, s18
	s_waitcnt lgkmcnt(9)
	v_add_f32_e32 v129, v29, v94
	s_waitcnt lgkmcnt(8)
	v_add_f32_e32 v94, v49, v97
	ds_bpermute_b32 v49, v38, v31
	ds_bpermute_b32 v101, v38, v148
	s_waitcnt lgkmcnt(9)
	v_add_f32_e32 v86, v53, v100
	v_cndmask_b32_e64 v28, -v28, v28, s18
	v_cndmask_b32_e64 v30, -v30, v30, s18
	ds_bpermute_b32 v53, v38, v26
	v_cndmask_b32_e64 v13, -v13, v13, s5
	v_cndmask_b32_e64 v24, -v24, v24, s18
	s_waitcnt lgkmcnt(9)
	v_add_f32_e32 v127, v28, v56
	s_waitcnt lgkmcnt(8)
	v_add_f32_e32 v93, v30, v95
	;; [unrolled: 2-line block ×3, first 2 shown]
	v_cndmask_b32_e64 v25, -v25, v25, s18
	v_cndmask_b32_e64 v28, -v131, v131, s18
	;; [unrolled: 1-line block ×3, first 2 shown]
	ds_bpermute_b32 v30, v38, v27
	ds_bpermute_b32 v50, v38, v87
	;; [unrolled: 1-line block ×3, first 2 shown]
	v_add_f32_e32 v13, v13, v139
	s_waitcnt lgkmcnt(9)
	v_add_f32_e32 v131, v24, v51
	s_waitcnt lgkmcnt(8)
	;; [unrolled: 2-line block ×4, first 2 shown]
	v_add_f32_e32 v99, v29, v55
	v_cndmask_b32_e64 v25, -v31, v31, s18
	v_cndmask_b32_e64 v28, -v148, v148, s18
	ds_bpermute_b32 v29, v38, v20
	ds_bpermute_b32 v31, v38, v21
	;; [unrolled: 1-line block ×4, first 2 shown]
	v_cndmask_b32_e64 v14, -v14, v14, s5
	v_cndmask_b32_e64 v26, -v26, v26, s18
	s_waitcnt lgkmcnt(9)
	v_add_f32_e32 v148, v25, v49
	s_waitcnt lgkmcnt(8)
	v_add_f32_e32 v101, v28, v101
	ds_bpermute_b32 v28, v38, v13
	ds_bpermute_b32 v49, v38, v151
	v_add_f32_e32 v14, v14, v140
	s_waitcnt lgkmcnt(9)
	v_add_f32_e32 v97, v26, v53
	v_cndmask_b32_e64 v24, -v27, v27, s18
	v_cndmask_b32_e64 v26, -v87, v87, s18
	v_cndmask_b32_e64 v27, -v147, v147, s18
	ds_bpermute_b32 v53, v38, v150
	v_cndmask_b32_e64 v20, -v20, v20, s18
	s_waitcnt lgkmcnt(9)
	v_add_f32_e32 v147, v24, v30
	s_waitcnt lgkmcnt(8)
	v_add_f32_e32 v87, v26, v50
	;; [unrolled: 2-line block ×3, first 2 shown]
	v_cndmask_b32_e64 v21, -v21, v21, s18
	v_cndmask_b32_e64 v24, -v88, v88, s18
	;; [unrolled: 1-line block ×3, first 2 shown]
	ds_bpermute_b32 v27, v38, v12
	ds_bpermute_b32 v30, v38, v14
	;; [unrolled: 1-line block ×3, first 2 shown]
	v_cndmask_b32_e64 v26, -v150, v150, s18
	s_waitcnt lgkmcnt(9)
	v_add_f32_e32 v149, v20, v29
	s_waitcnt lgkmcnt(8)
	v_add_f32_e32 v150, v21, v31
	;; [unrolled: 2-line block ×4, first 2 shown]
	v_cndmask_b32_e64 v13, -v13, v13, s18
	v_cndmask_b32_e64 v20, -v151, v151, s18
	ds_bpermute_b32 v24, v38, v15
	ds_bpermute_b32 v25, v38, v16
	;; [unrolled: 1-line block ×4, first 2 shown]
	v_cndmask_b32_e64 v21, -v152, v152, s18
	s_waitcnt lgkmcnt(9)
	v_add_f32_e32 v152, v13, v28
	s_waitcnt lgkmcnt(8)
	v_add_f32_e32 v105, v20, v49
	ds_bpermute_b32 v20, v38, v8
	ds_bpermute_b32 v28, v38, v155
	s_waitcnt lgkmcnt(9)
	v_add_f32_e32 v103, v26, v53
	v_cndmask_b32_e64 v12, -v12, v12, s18
	v_cndmask_b32_e64 v14, -v14, v14, s18
	ds_bpermute_b32 v26, v38, v17
	s_waitcnt lgkmcnt(7)
	v_add_f32_e32 v106, v21, v50
	v_cndmask_b32_e64 v13, -v16, v16, s18
	v_add_f32_e32 v151, v12, v27
	v_add_f32_e32 v104, v14, v30
	v_cndmask_b32_e64 v12, -v15, v15, s18
	v_cndmask_b32_e64 v14, -v17, v17, s18
	;; [unrolled: 1-line block ×4, first 2 shown]
	ds_bpermute_b32 v17, v38, v4
	ds_bpermute_b32 v21, v38, v9
	s_waitcnt lgkmcnt(8)
	v_add_f32_e32 v153, v12, v24
	s_waitcnt lgkmcnt(7)
	v_add_f32_e32 v154, v13, v25
	;; [unrolled: 2-line block ×4, first 2 shown]
	v_cndmask_b32_e64 v8, -v8, v8, s18
	v_cndmask_b32_e64 v12, -v155, v155, s18
	ds_bpermute_b32 v13, v38, v0
	ds_bpermute_b32 v15, v38, v5
	;; [unrolled: 1-line block ×3, first 2 shown]
	s_waitcnt lgkmcnt(7)
	v_add_f32_e32 v108, v8, v20
	s_waitcnt lgkmcnt(6)
	v_add_f32_e32 v56, v12, v28
	ds_bpermute_b32 v8, v48, v2
	ds_bpermute_b32 v12, v48, v6
	;; [unrolled: 1-line block ×4, first 2 shown]
	s_waitcnt lgkmcnt(9)
	v_add_f32_e32 v50, v14, v26
	v_cndmask_b32_e64 v4, -v4, v4, s18
	v_cndmask_b32_e64 v9, -v9, v9, s18
	ds_bpermute_b32 v14, v38, v1
	ds_bpermute_b32 v24, v38, v157
	v_cndmask_b32_e64 v0, -v0, v0, s18
	s_waitcnt lgkmcnt(10)
	v_add_f32_e32 v107, v4, v17
	s_waitcnt lgkmcnt(9)
	v_add_f32_e32 v54, v9, v21
	v_cndmask_b32_e64 v4, -v5, v5, s18
	v_cndmask_b32_e64 v5, -v156, v156, s18
	ds_bpermute_b32 v9, v48, v3
	ds_bpermute_b32 v17, v48, v158
	s_waitcnt lgkmcnt(10)
	v_add_f32_e32 v110, v0, v13
	s_waitcnt lgkmcnt(9)
	v_add_f32_e32 v109, v4, v15
	;; [unrolled: 2-line block ×3, first 2 shown]
	v_cndmask_b32_e64 v0, -v2, v2, s4
	v_cndmask_b32_e64 v2, -v6, v6, s4
	;; [unrolled: 1-line block ×3, first 2 shown]
	ds_bpermute_b32 v15, v48, v11
	ds_bpermute_b32 v16, v48, v18
	;; [unrolled: 1-line block ×3, first 2 shown]
	v_cndmask_b32_e64 v7, -v7, v7, s18
	v_cndmask_b32_e64 v1, -v1, v1, s18
	s_waitcnt lgkmcnt(10)
	v_add_f32_e32 v4, v0, v8
	s_waitcnt lgkmcnt(9)
	v_add_f32_e32 v6, v2, v12
	;; [unrolled: 2-line block ×3, first 2 shown]
	ds_bpermute_b32 v12, v48, v23
	ds_bpermute_b32 v13, v48, v41
	s_waitcnt lgkmcnt(9)
	v_add_f32_e32 v55, v7, v27
	v_cndmask_b32_e64 v7, -v157, v157, s18
	s_waitcnt lgkmcnt(8)
	v_add_f32_e32 v111, v1, v14
	v_cndmask_b32_e64 v1, -v3, v3, s4
	v_cndmask_b32_e64 v3, -v158, v158, s4
	ds_bpermute_b32 v14, v48, v10
	s_waitcnt lgkmcnt(8)
	v_add_f32_e32 v52, v7, v24
	v_cndmask_b32_e64 v2, -v11, v11, s4
	s_waitcnt lgkmcnt(7)
	v_add_f32_e32 v5, v1, v9
	s_waitcnt lgkmcnt(6)
	v_add_f32_e32 v7, v3, v17
	v_cndmask_b32_e64 v1, -v10, v10, s4
	v_cndmask_b32_e64 v3, -v18, v18, s4
	v_cndmask_b32_e64 v8, -v40, v40, s4
	ds_bpermute_b32 v10, v48, v19
	ds_bpermute_b32 v11, v48, v22
	;; [unrolled: 1-line block ×4, first 2 shown]
	s_waitcnt lgkmcnt(9)
	v_add_f32_e32 v2, v2, v15
	s_waitcnt lgkmcnt(8)
	v_add_f32_e32 v3, v3, v16
	;; [unrolled: 2-line block ×3, first 2 shown]
	v_cndmask_b32_e64 v15, -v22, v22, s4
	v_cndmask_b32_e64 v16, -v23, v23, s4
	;; [unrolled: 1-line block ×3, first 2 shown]
	ds_bpermute_b32 v20, v48, v32
	ds_bpermute_b32 v21, v48, v33
	;; [unrolled: 1-line block ×5, first 2 shown]
	s_waitcnt lgkmcnt(11)
	v_add_f32_e32 v16, v16, v12
	s_waitcnt lgkmcnt(10)
	v_add_f32_e32 v17, v17, v13
	v_cndmask_b32_e64 v12, -v32, v32, s4
	v_cndmask_b32_e64 v13, -v33, v33, s4
	ds_bpermute_b32 v29, v48, v35
	ds_bpermute_b32 v30, v48, v36
	;; [unrolled: 1-line block ×5, first 2 shown]
	s_waitcnt lgkmcnt(14)
	v_add_f32_e32 v1, v1, v14
	v_cndmask_b32_e64 v14, -v19, v19, s4
	v_cndmask_b32_e64 v9, -v160, v160, s4
	;; [unrolled: 1-line block ×3, first 2 shown]
	s_waitcnt lgkmcnt(12)
	v_add_f32_e32 v11, v15, v11
	v_cndmask_b32_e64 v15, -v43, v43, s4
	v_add_f32_e32 v10, v14, v10
	v_cndmask_b32_e64 v14, -v34, v34, s4
	v_cndmask_b32_e64 v28, -v161, v161, s4
	s_waitcnt lgkmcnt(11)
	v_add_f32_e32 v9, v9, v24
	s_waitcnt lgkmcnt(10)
	v_add_f32_e32 v18, v19, v18
	;; [unrolled: 2-line block ×7, first 2 shown]
	v_cndmask_b32_e64 v12, -v35, v35, s4
	v_cndmask_b32_e64 v13, -v36, v36, s4
	;; [unrolled: 1-line block ×5, first 2 shown]
	ds_bpermute_b32 v21, v48, v39
	ds_bpermute_b32 v22, v48, v44
	;; [unrolled: 1-line block ×5, first 2 shown]
	s_waitcnt lgkmcnt(9)
	v_add_f32_e32 v40, v12, v29
	s_waitcnt lgkmcnt(8)
	v_add_f32_e32 v41, v13, v30
	;; [unrolled: 2-line block ×5, first 2 shown]
	ds_bpermute_b32 v29, v48, v46
	ds_bpermute_b32 v30, v48, v47
	;; [unrolled: 1-line block ×5, first 2 shown]
	v_cndmask_b32_e64 v12, -v39, v39, s4
	v_cndmask_b32_e64 v13, -v44, v44, s4
	v_cndmask_b32_e64 v14, -v45, v45, s4
	v_cndmask_b32_e64 v15, -v164, v164, s4
	v_cndmask_b32_e64 v20, -v165, v165, s4
	s_waitcnt lgkmcnt(9)
	v_add_f32_e32 v37, v12, v21
	s_waitcnt lgkmcnt(8)
	v_add_f32_e32 v38, v13, v22
	;; [unrolled: 2-line block ×5, first 2 shown]
	v_cndmask_b32_e64 v12, -v46, v46, s4
	v_cndmask_b32_e64 v13, -v47, v47, s4
	;; [unrolled: 1-line block ×5, first 2 shown]
	ds_bpermute_b32 v21, v48, v90
	ds_bpermute_b32 v22, v48, v91
	;; [unrolled: 1-line block ×5, first 2 shown]
	s_waitcnt lgkmcnt(9)
	v_add_f32_e32 v136, v12, v29
	s_waitcnt lgkmcnt(8)
	v_add_f32_e32 v137, v13, v30
	;; [unrolled: 2-line block ×5, first 2 shown]
	ds_bpermute_b32 v32, v48, v57
	ds_bpermute_b32 v33, v48, v58
	;; [unrolled: 1-line block ×5, first 2 shown]
	v_cndmask_b32_e64 v15, -v90, v90, s4
	v_cndmask_b32_e64 v20, -v91, v91, s4
	;; [unrolled: 1-line block ×5, first 2 shown]
	s_waitcnt lgkmcnt(9)
	v_add_f32_e32 v15, v15, v21
	s_waitcnt lgkmcnt(8)
	v_add_f32_e32 v20, v20, v22
	;; [unrolled: 2-line block ×5, first 2 shown]
	v_cndmask_b32_e64 v28, -v57, v57, s4
	v_cndmask_b32_e64 v29, -v58, v58, s4
	v_cndmask_b32_e64 v30, -v59, v59, s4
	v_cndmask_b32_e64 v31, -v170, v170, s4
	v_cndmask_b32_e64 v46, -v171, v171, s4
	ds_bpermute_b32 v47, v48, v60
	ds_bpermute_b32 v57, v48, v61
	ds_bpermute_b32 v58, v48, v62
	ds_bpermute_b32 v59, v48, v172
	ds_bpermute_b32 v89, v48, v173
	s_waitcnt lgkmcnt(9)
	v_add_f32_e32 v32, v28, v32
	s_waitcnt lgkmcnt(8)
	v_add_f32_e32 v33, v29, v33
	;; [unrolled: 2-line block ×5, first 2 shown]
	v_cndmask_b32_e64 v29, -v60, v60, s4
	v_cndmask_b32_e64 v30, -v61, v61, s4
	;; [unrolled: 1-line block ×3, first 2 shown]
	ds_bpermute_b32 v46, v48, v63
	ds_bpermute_b32 v60, v48, v64
	ds_bpermute_b32 v61, v48, v65
	ds_bpermute_b32 v62, v48, v112
	ds_bpermute_b32 v90, v48, v113
	v_cndmask_b32_e64 v44, -v172, v172, s4
	v_cndmask_b32_e64 v45, -v173, v173, s4
	s_waitcnt lgkmcnt(9)
	v_add_f32_e32 v29, v29, v47
	s_waitcnt lgkmcnt(8)
	v_add_f32_e32 v30, v30, v57
	;; [unrolled: 2-line block ×4, first 2 shown]
	v_cndmask_b32_e64 v47, -v63, v63, s4
	v_cndmask_b32_e64 v57, -v64, v64, s4
	;; [unrolled: 1-line block ×5, first 2 shown]
	ds_bpermute_b32 v64, v48, v66
	ds_bpermute_b32 v65, v48, v67
	;; [unrolled: 1-line block ×4, first 2 shown]
	s_waitcnt lgkmcnt(9)
	v_add_f32_e32 v45, v45, v89
	ds_bpermute_b32 v89, v48, v68
	s_waitcnt lgkmcnt(9)
	v_add_f32_e32 v46, v47, v46
	s_waitcnt lgkmcnt(8)
	v_add_f32_e32 v47, v57, v60
	s_waitcnt lgkmcnt(7)
	v_add_f32_e32 v57, v58, v61
	s_waitcnt lgkmcnt(6)
	v_add_f32_e32 v58, v59, v62
	s_waitcnt lgkmcnt(5)
	v_add_f32_e32 v59, v63, v90
	v_cndmask_b32_e64 v61, -v67, v67, s4
	ds_bpermute_b32 v67, v48, v69
	ds_bpermute_b32 v90, v48, v71
	;; [unrolled: 1-line block ×3, first 2 shown]
	v_cndmask_b32_e64 v62, -v68, v68, s4
	ds_bpermute_b32 v68, v48, v70
	ds_bpermute_b32 v112, v48, v116
	v_cndmask_b32_e64 v60, -v66, v66, s4
	v_cndmask_b32_e64 v63, -v114, v114, s4
	;; [unrolled: 1-line block ×3, first 2 shown]
	s_waitcnt lgkmcnt(8)
	v_add_f32_e32 v61, v61, v65
	v_cndmask_b32_e64 v65, -v69, v69, s4
	v_add_f32_e32 v60, v60, v64
	s_waitcnt lgkmcnt(7)
	v_add_f32_e32 v63, v63, v91
	s_waitcnt lgkmcnt(6)
	v_add_f32_e32 v64, v66, v92
	v_cndmask_b32_e64 v69, -v71, v71, s4
	v_cndmask_b32_e64 v71, -v117, v117, s4
	ds_bpermute_b32 v91, v48, v73
	ds_bpermute_b32 v92, v48, v74
	;; [unrolled: 1-line block ×4, first 2 shown]
	s_waitcnt lgkmcnt(9)
	v_add_f32_e32 v62, v62, v89
	v_cndmask_b32_e64 v66, -v70, v70, s4
	v_cndmask_b32_e64 v70, -v116, v116, s4
	ds_bpermute_b32 v89, v48, v72
	s_waitcnt lgkmcnt(9)
	v_add_f32_e32 v65, v65, v67
	s_waitcnt lgkmcnt(8)
	v_add_f32_e32 v67, v69, v90
	;; [unrolled: 2-line block ×3, first 2 shown]
	ds_bpermute_b32 v90, v48, v75
	ds_bpermute_b32 v113, v48, v77
	;; [unrolled: 1-line block ×4, first 2 shown]
	s_waitcnt lgkmcnt(10)
	v_add_f32_e32 v66, v66, v68
	s_waitcnt lgkmcnt(9)
	v_add_f32_e32 v68, v70, v112
	ds_bpermute_b32 v112, v48, v76
	v_cndmask_b32_e64 v70, -v72, v72, s4
	v_cndmask_b32_e64 v71, -v73, v73, s4
	;; [unrolled: 1-line block ×6, first 2 shown]
	s_waitcnt lgkmcnt(9)
	v_add_f32_e32 v71, v71, v91
	s_waitcnt lgkmcnt(8)
	v_add_f32_e32 v72, v72, v92
	;; [unrolled: 2-line block ×4, first 2 shown]
	v_cndmask_b32_e64 v77, -v77, v77, s4
	v_cndmask_b32_e64 v91, -v120, v120, s4
	;; [unrolled: 1-line block ×3, first 2 shown]
	ds_bpermute_b32 v114, v48, v78
	ds_bpermute_b32 v115, v48, v79
	;; [unrolled: 1-line block ×3, first 2 shown]
	s_waitcnt lgkmcnt(8)
	v_add_f32_e32 v70, v70, v89
	v_cndmask_b32_e64 v76, -v76, v76, s4
	ds_bpermute_b32 v119, v48, v122
	ds_bpermute_b32 v120, v48, v123
	s_waitcnt lgkmcnt(9)
	v_add_f32_e32 v75, v75, v90
	s_waitcnt lgkmcnt(8)
	v_add_f32_e32 v89, v77, v113
	;; [unrolled: 2-line block ×4, first 2 shown]
	v_cndmask_b32_e64 v77, -v78, v78, s4
	v_cndmask_b32_e64 v78, -v79, v79, s4
	;; [unrolled: 1-line block ×4, first 2 shown]
	ds_bpermute_b32 v113, v48, v81
	ds_bpermute_b32 v116, v48, v82
	ds_bpermute_b32 v117, v48, v83
	ds_bpermute_b32 v121, v48, v125
	ds_bpermute_b32 v122, v48, v126
	s_waitcnt lgkmcnt(10)
	v_add_f32_e32 v76, v76, v112
	v_cndmask_b32_e64 v112, -v123, v123, s4
	ds_bpermute_b32 v123, v48, v86
	s_waitcnt lgkmcnt(10)
	v_add_f32_e32 v92, v77, v114
	s_waitcnt lgkmcnt(9)
	v_add_f32_e32 v77, v78, v115
	;; [unrolled: 2-line block ×3, first 2 shown]
	v_cndmask_b32_e64 v81, -v81, v81, s4
	v_cndmask_b32_e64 v82, -v82, v82, s4
	v_cndmask_b32_e64 v83, -v83, v83, s4
	v_cndmask_b32_e64 v115, -v125, v125, s4
	v_cndmask_b32_e64 v118, -v126, v126, s4
	ds_bpermute_b32 v125, v48, v127
	ds_bpermute_b32 v126, v48, v129
	s_waitcnt lgkmcnt(9)
	v_add_f32_e32 v79, v80, v119
	s_waitcnt lgkmcnt(8)
	v_add_f32_e32 v80, v112, v120
	ds_bpermute_b32 v119, v48, v84
	ds_bpermute_b32 v120, v48, v85
	s_waitcnt lgkmcnt(9)
	v_add_f32_e32 v112, v81, v113
	s_waitcnt lgkmcnt(8)
	v_add_f32_e32 v113, v82, v116
	s_waitcnt lgkmcnt(7)
	v_add_f32_e32 v114, v83, v117
	s_waitcnt lgkmcnt(6)
	v_add_f32_e32 v115, v115, v121
	s_waitcnt lgkmcnt(5)
	v_add_f32_e32 v81, v118, v122
	v_cndmask_b32_e64 v82, -v84, v84, s4
	v_cndmask_b32_e64 v83, -v85, v85, s4
	;; [unrolled: 1-line block ×4, first 2 shown]
	ds_bpermute_b32 v118, v48, v93
	ds_bpermute_b32 v121, v48, v94
	;; [unrolled: 1-line block ×5, first 2 shown]
	v_cndmask_b32_e64 v86, -v129, v129, s4
	s_waitcnt lgkmcnt(9)
	v_add_f32_e32 v84, v84, v123
	ds_bpermute_b32 v123, v48, v97
	ds_bpermute_b32 v129, v48, v147
	;; [unrolled: 1-line block ×4, first 2 shown]
	s_waitcnt lgkmcnt(12)
	v_add_f32_e32 v116, v85, v125
	s_waitcnt lgkmcnt(11)
	v_add_f32_e32 v117, v86, v126
	v_cndmask_b32_e64 v85, -v93, v93, s4
	v_cndmask_b32_e64 v86, -v94, v94, s4
	;; [unrolled: 1-line block ×5, first 2 shown]
	ds_bpermute_b32 v125, v48, v98
	s_waitcnt lgkmcnt(11)
	v_add_f32_e32 v82, v82, v119
	s_waitcnt lgkmcnt(10)
	v_add_f32_e32 v83, v83, v120
	ds_bpermute_b32 v126, v48, v99
	s_waitcnt lgkmcnt(10)
	v_add_f32_e32 v118, v85, v118
	s_waitcnt lgkmcnt(9)
	v_add_f32_e32 v119, v86, v121
	s_waitcnt lgkmcnt(8)
	v_add_f32_e32 v120, v93, v122
	s_waitcnt lgkmcnt(7)
	v_add_f32_e32 v121, v94, v127
	s_waitcnt lgkmcnt(6)
	v_add_f32_e32 v122, v95, v128
	v_cndmask_b32_e64 v85, -v97, v97, s4
	v_cndmask_b32_e64 v86, -v98, v98, s4
	;; [unrolled: 1-line block ×5, first 2 shown]
	ds_bpermute_b32 v97, v48, v87
	ds_bpermute_b32 v98, v48, v100
	;; [unrolled: 1-line block ×4, first 2 shown]
	s_waitcnt lgkmcnt(9)
	v_add_f32_e32 v123, v85, v123
	s_waitcnt lgkmcnt(8)
	v_add_f32_e32 v127, v94, v129
	;; [unrolled: 2-line block ×3, first 2 shown]
	v_cndmask_b32_e64 v85, -v87, v87, s4
	v_cndmask_b32_e64 v87, -v101, v101, s4
	;; [unrolled: 1-line block ×3, first 2 shown]
	ds_bpermute_b32 v95, v48, v88
	ds_bpermute_b32 v101, v48, v102
	;; [unrolled: 1-line block ×4, first 2 shown]
	s_waitcnt lgkmcnt(10)
	v_add_f32_e32 v138, v94, v132
	ds_bpermute_b32 v94, v48, v104
	ds_bpermute_b32 v132, v48, v106
	;; [unrolled: 1-line block ×3, first 2 shown]
	s_waitcnt lgkmcnt(12)
	v_add_f32_e32 v125, v86, v125
	v_cndmask_b32_e64 v86, -v100, v100, s4
	s_waitcnt lgkmcnt(11)
	v_add_f32_e32 v126, v93, v126
	v_cndmask_b32_e64 v93, -v149, v149, s4
	ds_bpermute_b32 v133, v48, v152
	s_waitcnt lgkmcnt(11)
	v_add_f32_e32 v97, v85, v97
	s_waitcnt lgkmcnt(10)
	v_add_f32_e32 v98, v86, v98
	;; [unrolled: 2-line block ×3, first 2 shown]
	v_cndmask_b32_e64 v85, -v88, v88, s4
	v_cndmask_b32_e64 v86, -v102, v102, s4
	;; [unrolled: 1-line block ×4, first 2 shown]
	s_waitcnt lgkmcnt(8)
	v_add_f32_e32 v100, v93, v131
	ds_bpermute_b32 v131, v48, v105
	ds_bpermute_b32 v144, v48, v154
	s_waitcnt lgkmcnt(9)
	v_add_f32_e32 v139, v85, v95
	s_waitcnt lgkmcnt(8)
	v_add_f32_e32 v140, v86, v101
	;; [unrolled: 2-line block ×4, first 2 shown]
	v_cndmask_b32_e64 v85, -v104, v104, s4
	v_cndmask_b32_e64 v87, -v106, v106, s4
	v_cndmask_b32_e64 v88, -v153, v153, s4
	ds_bpermute_b32 v95, v48, v50
	ds_bpermute_b32 v106, v48, v53
	s_waitcnt lgkmcnt(7)
	v_add_f32_e32 v103, v85, v94
	s_waitcnt lgkmcnt(6)
	v_add_f32_e32 v142, v87, v132
	;; [unrolled: 2-line block ×3, first 2 shown]
	ds_bpermute_b32 v85, v48, v54
	ds_bpermute_b32 v87, v48, v56
	;; [unrolled: 1-line block ×3, first 2 shown]
	v_cndmask_b32_e64 v93, -v152, v152, s4
	v_cndmask_b32_e64 v86, -v105, v105, s4
	ds_bpermute_b32 v105, v48, v51
	v_cndmask_b32_e64 v50, -v50, v50, s4
	v_cndmask_b32_e64 v53, -v53, v53, s4
	s_waitcnt lgkmcnt(8)
	v_add_f32_e32 v102, v93, v133
	v_cndmask_b32_e64 v93, -v154, v154, s4
	s_waitcnt lgkmcnt(7)
	v_add_f32_e32 v104, v86, v131
	ds_bpermute_b32 v86, v48, v55
	v_cndmask_b32_e64 v51, -v51, v51, s4
	s_waitcnt lgkmcnt(0)
	v_add_f32_e32 v144, v93, v144
	ds_bpermute_b32 v93, v48, v111
	v_add_f32_e32 v145, v50, v95
	v_add_f32_e32 v106, v53, v106
	v_cndmask_b32_e64 v50, -v54, v54, s4
	v_cndmask_b32_e64 v53, -v56, v56, s4
	v_cndmask_b32_e64 v54, -v110, v110, s4
	s_barrier
	s_waitcnt lgkmcnt(0)
	buffer_gl0_inv
	v_add_f32_e32 v152, v50, v85
	v_add_f32_e32 v154, v53, v87
	;; [unrolled: 1-line block ×3, first 2 shown]
	ds_bpermute_b32 v50, v48, v109
	ds_bpermute_b32 v53, v48, v49
	;; [unrolled: 1-line block ×3, first 2 shown]
	v_add_f32_e32 v105, v51, v105
	v_cndmask_b32_e64 v51, -v55, v55, s4
	v_cndmask_b32_e64 v55, -v111, v111, s4
	ds_write_b128 v96, v[4:7]
	ds_write_b128 v96, v[0:3] offset:4096
	ds_write_b128 v96, v[8:11] offset:8192
	ds_write_b128 v96, v[16:19] offset:12288
	ds_write_b128 v96, v[24:27] offset:16384
	ds_write_b128 v96, v[40:43] offset:20480
	ds_write_b128 v96, v[36:39] offset:24576
	ds_write_b128 v96, v[134:137] offset:28672
	v_cndmask_b32_e64 v52, -v52, v52, s4
	s_waitcnt lgkmcnt(0)
	v_add_f32_e32 v153, v51, v86
	v_cndmask_b32_e64 v51, -v109, v109, s4
	v_add_f32_e32 v134, v55, v93
	v_cndmask_b32_e64 v55, -v49, v49, s4
	s_barrier
	buffer_gl0_inv
	ds_read_b128 v[0:3], v124
	ds_read_b128 v[4:7], v124 offset:8192
	ds_read_b128 v[8:11], v124 offset:16384
	;; [unrolled: 1-line block ×3, first 2 shown]
	ds_bpermute_b32 v129, v48, v107
	ds_bpermute_b32 v130, v48, v108
	v_cndmask_b32_e64 v94, -v107, v107, s4
	v_cndmask_b32_e64 v108, -v108, v108, s4
	v_add_f32_e32 v135, v51, v50
	ds_read_b128 v[36:39], v124 offset:4096
	ds_read_b128 v[48:51], v124 offset:12288
	;; [unrolled: 1-line block ×4, first 2 shown]
	v_add_f32_e32 v136, v55, v53
	v_add_f32_e32 v137, v52, v54
	s_waitcnt lgkmcnt(0)
	s_barrier
	buffer_gl0_inv
	ds_write_b128 v96, v[12:15]
	ds_write_b128 v96, v[20:23] offset:4096
	ds_write_b128 v96, v[32:35] offset:8192
	;; [unrolled: 1-line block ×7, first 2 shown]
	s_waitcnt lgkmcnt(0)
	s_barrier
	buffer_gl0_inv
	ds_read_b128 v[56:59], v124
	ds_read_b128 v[32:35], v124 offset:4096
	ds_read_b128 v[60:63], v124 offset:8192
	;; [unrolled: 1-line block ×7, first 2 shown]
	s_waitcnt lgkmcnt(0)
	v_add_f32_e32 v168, v0, v4
	v_add_f32_e32 v169, v1, v5
	;; [unrolled: 1-line block ×10, first 2 shown]
	s_barrier
	buffer_gl0_inv
	ds_write_b128 v96, v[69:72]
	ds_write_b128 v96, v[73:76] offset:4096
	ds_write_b128 v96, v[89:92] offset:8192
	;; [unrolled: 1-line block ×7, first 2 shown]
	v_add_f32_e32 v215, v56, v60
	v_add_f32_e32 v216, v57, v61
	s_waitcnt lgkmcnt(0)
	s_barrier
	v_add_f32_e32 v223, v28, v44
	v_add_f32_e32 v224, v29, v45
	buffer_gl0_inv
	ds_read_b128 v[88:91], v124
	ds_read_b128 v[76:79], v124 offset:4096
	ds_read_b128 v[92:95], v124 offset:8192
	;; [unrolled: 1-line block ×7, first 2 shown]
	s_waitcnt lgkmcnt(0)
	v_add_f32_e32 v184, v215, v223
	s_barrier
	buffer_gl0_inv
	ds_write_b128 v96, v[125:128]
	ds_write_b128 v96, v[97:100] offset:4096
	ds_write_b128 v96, v[138:141] offset:8192
	;; [unrolled: 1-line block ×7, first 2 shown]
	v_add_f32_e32 v217, v58, v62
	v_add_f32_e32 v225, v30, v46
	;; [unrolled: 1-line block ×7, first 2 shown]
	s_waitcnt lgkmcnt(0)
	s_barrier
	buffer_gl0_inv
	ds_read_b128 v[96:99], v124 offset:8192
	ds_read_b128 v[104:107], v124
	v_add_f32_e32 v218, v59, v63
	v_add_f32_e32 v226, v31, v47
	ds_read_b128 v[100:103], v124 offset:4096
	ds_read_b128 v[108:111], v124 offset:12288
	;; [unrolled: 1-line block ×6, first 2 shown]
	v_add_f32_e32 v186, v217, v225
	buffer_store_dword v128, off, s[36:39], 0 offset:88 ; 4-byte Folded Spill
	v_add_f32_e32 v128, v131, v185
	v_add_f32_e32 v176, v36, v48
	v_add_f32_e32 v178, v24, v40
	v_add_f32_e32 v147, v174, v175
	v_add_f32_e32 v219, v32, v52
	v_add_f32_e32 v227, v12, v20
	v_add_f32_e32 v187, v218, v226
	buffer_store_dword v128, off, s[36:39], 0 offset:92 ; 4-byte Folded Spill
	v_add_f32_e32 v128, v133, v186
	v_add_f32_e32 v177, v37, v49
	v_add_f32_e32 v179, v25, v41
	v_add_f32_e32 v148, v176, v178
	v_add_f32_e32 v220, v33, v53
	v_add_f32_e32 v228, v13, v21
	;; [unrolled: 8-line block ×4, first 2 shown]
	v_add_f32_e32 v190, v221, v229
	buffer_store_dword v128, off, s[36:39], 0 offset:80 ; 4-byte Folded Spill
	v_add_f32_e32 v128, v149, v189
	v_add_f32_e32 v151, v181, v183
	;; [unrolled: 1-line block ×4, first 2 shown]
	s_waitcnt lgkmcnt(6)
	v_add_f32_e32 v247, v104, v96
	s_waitcnt lgkmcnt(2)
	v_add_f32_e32 v255, v120, v116
	v_add_f32_e32 v191, v222, v230
	buffer_store_dword v128, off, s[36:39], 0 offset:76 ; 4-byte Folded Spill
	v_add_f32_e32 v128, v150, v190
	v_add_f32_e32 v232, v89, v93
	v_add_f32_e32 v240, v73, v81
	v_add_f32_e32 v248, v105, v97
	v_add_f32_e32 v134, v121, v117
	v_add_f32_e32 v192, v231, v239
	v_add_f32_e32 v200, v247, v255
	buffer_store_dword v128, off, s[36:39], 0 offset:100 ; 4-byte Folded Spill
	v_add_f32_e32 v128, v151, v191
	v_add_f32_e32 v233, v90, v94
	v_add_f32_e32 v241, v74, v82
	v_add_f32_e32 v249, v106, v98
	v_add_f32_e32 v135, v122, v118
	;; [unrolled: 8-line block ×3, first 2 shown]
	v_add_f32_e32 v194, v233, v241
	v_add_f32_e32 v202, v249, v135
	buffer_store_dword v128, off, s[36:39], 0 offset:120 ; 4-byte Folded Spill
	v_add_f32_e32 v128, v193, v201
	v_add_f32_e32 v235, v76, v84
	;; [unrolled: 1-line block ×4, first 2 shown]
	s_waitcnt lgkmcnt(0)
	v_add_f32_e32 v137, v112, v124
	v_add_f32_e32 v195, v234, v242
	v_add_f32_e32 v203, v250, v136
	buffer_store_dword v128, off, s[36:39], 0 offset:124 ; 4-byte Folded Spill
	v_add_f32_e32 v128, v194, v202
	v_add_f32_e32 v236, v77, v85
	v_add_f32_e32 v244, v65, v69
	v_add_f32_e32 v252, v101, v109
	v_add_f32_e32 v138, v113, v125
	v_add_f32_e32 v196, v235, v243
	v_add_f32_e32 v204, v251, v137
	buffer_store_dword v128, off, s[36:39], 0 offset:128 ; 4-byte Folded Spill
	v_add_f32_e32 v128, v195, v203
	v_add_f32_e32 v237, v78, v86
	v_add_f32_e32 v245, v66, v70
	v_add_f32_e32 v253, v102, v110
	;; [unrolled: 8-line block ×3, first 2 shown]
	v_add_f32_e32 v140, v115, v127
	v_add_f32_e32 v198, v237, v245
	v_add_f32_e32 v206, v253, v139
	buffer_store_dword v128, off, s[36:39], 0 offset:112 ; 4-byte Folded Spill
	v_add_f32_e32 v128, v197, v205
	s_mul_i32 s5, s26, s28
	s_mul_hi_u32 s18, s26, s6
	v_add_f32_e32 v199, v238, v246
	v_add_f32_e32 v207, v254, v140
	buffer_store_dword v128, off, s[36:39], 0 offset:108 ; 4-byte Folded Spill
	v_add_f32_e32 v128, v198, v206
	s_add_i32 s5, s18, s5
	s_mul_i32 s18, s27, s6
	s_mul_i32 s4, s26, s6
	s_add_i32 s5, s5, s18
	buffer_store_dword v128, off, s[36:39], 0 offset:132 ; 4-byte Folded Spill
	s_lshl_b64 s[4:5], s[4:5], 1
	v_add_f32_e32 v128, v199, v207
	s_add_u32 s4, s22, s4
	s_addc_u32 s5, s23, s5
	buffer_store_dword v128, off, s[36:39], 0 offset:116 ; 4-byte Folded Spill
	s_and_saveexec_b32 s6, s16
	s_cbranch_execz .LBB25_34
; %bb.33:
	v_add_f32_e32 v128, v151, v191
	v_add_f32_e32 v130, v199, v207
	;; [unrolled: 1-line block ×20, first 2 shown]
	v_fma_mixlo_f16 v142, s21, v142, 0
	v_add_f32_e32 v152, v143, v144
	v_add_f32_e32 v143, v131, v185
	;; [unrolled: 1-line block ×3, first 2 shown]
	v_fma_mixhi_f16 v142, s21, v145, 0
	v_add_f32_e32 v153, v143, v144
	v_fma_mixlo_f16 v144, s21, v130, 0
	v_fma_mixlo_f16 v143, s21, v141, 0
	v_fma_mixlo_f16 v141, s21, v152, 0
	v_fma_mixhi_f16 v144, s21, v128, 0
	v_fma_mixhi_f16 v143, s21, v132, 0
	;; [unrolled: 1-line block ×3, first 2 shown]
	global_store_dwordx4 v146, v[141:144], s[4:5]
.LBB25_34:
	s_or_b32 exec_lo, exec_lo, s6
	v_sub_f32_e32 v141, v1, v5
	v_sub_f32_e32 v142, v0, v4
	;; [unrolled: 1-line block ×64, first 2 shown]
	v_add_f32_e32 v146, v142, v143
	v_add_f32_e32 v208, v141, v144
	;; [unrolled: 1-line block ×48, first 2 shown]
	s_and_saveexec_b32 s6, s15
	s_cbranch_execz .LBB25_36
; %bb.35:
	v_add_f32_e32 v16, v4, v12
	v_add_f32_e32 v20, v5, v13
	;; [unrolled: 1-line block ×5, first 2 shown]
	v_fma_mixlo_f16 v16, s21, v16, 0
	v_add_f32_e32 v22, v0, v8
	v_add_f32_e32 v23, v1, v9
	;; [unrolled: 1-line block ×3, first 2 shown]
	v_fma_mixlo_f16 v19, s21, v18, 0
	v_fma_mixhi_f16 v16, s21, v20, 0
	buffer_load_dword v20, off, s[36:39], 0 offset:68 ; 4-byte Folded Reload
	v_fma_mixlo_f16 v18, s21, v21, 0
	v_fma_mixlo_f16 v17, s21, v17, 0
	v_fma_mixhi_f16 v19, s21, v24, 0
	v_fma_mixhi_f16 v18, s21, v23, 0
	;; [unrolled: 1-line block ×3, first 2 shown]
	s_waitcnt vmcnt(0)
	global_store_dwordx4 v20, v[16:19], s[4:5]
.LBB25_36:
	s_or_b32 exec_lo, exec_lo, s6
	v_sub_f32_e32 v96, v168, v170
	v_sub_f32_e32 v97, v169, v171
	;; [unrolled: 1-line block ×32, first 2 shown]
	v_add_f32_e32 v20, v96, v104
	v_add_f32_e32 v21, v97, v105
	v_add_f32_e32 v22, v98, v106
	v_add_f32_e32 v16, v99, v107
	v_add_f32_e32 v18, v100, v108
	v_add_f32_e32 v17, v101, v109
	v_add_f32_e32 v23, v102, v110
	v_add_f32_e32 v19, v103, v111
	v_add_f32_e32 v28, v112, v120
	v_add_f32_e32 v29, v113, v121
	v_add_f32_e32 v30, v114, v122
	v_add_f32_e32 v24, v115, v123
	v_add_f32_e32 v26, v116, v124
	v_add_f32_e32 v25, v117, v125
	v_add_f32_e32 v31, v118, v126
	v_add_f32_e32 v27, v119, v127
	s_and_saveexec_b32 s6, s13
	s_cbranch_execz .LBB25_38
; %bb.37:
	v_add_f32_e32 v134, v20, v28
	v_add_f32_e32 v138, v21, v29
	;; [unrolled: 1-line block ×5, first 2 shown]
	v_fma_mixlo_f16 v134, s21, v134, 0
	v_add_f32_e32 v140, v16, v24
	v_add_f32_e32 v168, v17, v25
	;; [unrolled: 1-line block ×3, first 2 shown]
	v_fma_mixlo_f16 v137, s21, v136, 0
	v_fma_mixhi_f16 v134, s21, v138, 0
	buffer_load_dword v138, off, s[36:39], 0 offset:64 ; 4-byte Folded Reload
	v_fma_mixlo_f16 v136, s21, v139, 0
	v_fma_mixlo_f16 v135, s21, v135, 0
	v_fma_mixhi_f16 v137, s21, v169, 0
	v_fma_mixhi_f16 v136, s21, v168, 0
	;; [unrolled: 1-line block ×3, first 2 shown]
	s_waitcnt vmcnt(0)
	global_store_dwordx4 v138, v[134:137], s[4:5]
.LBB25_38:
	s_or_b32 exec_lo, exec_lo, s6
	v_sub_f32_e32 v134, v141, v144
	v_sub_f32_e32 v135, v142, v143
	;; [unrolled: 1-line block ×32, first 2 shown]
	v_add_f32_e32 v36, v135, v142
	v_add_f32_e32 v37, v134, v141
	;; [unrolled: 1-line block ×16, first 2 shown]
	s_and_saveexec_b32 s6, s7
	s_cbranch_execz .LBB25_40
; %bb.39:
	v_add_f32_e32 v48, v36, v44
	v_add_f32_e32 v52, v37, v45
	v_add_f32_e32 v49, v38, v46
	v_add_f32_e32 v50, v39, v47
	v_add_f32_e32 v53, v34, v42
	v_fma_mixlo_f16 v48, s21, v48, 0
	v_add_f32_e32 v54, v32, v40
	v_add_f32_e32 v55, v33, v41
	v_add_f32_e32 v56, v35, v43
	v_fma_mixlo_f16 v51, s21, v50, 0
	v_fma_mixhi_f16 v48, s21, v52, 0
	buffer_load_dword v52, off, s[36:39], 0 offset:32 ; 4-byte Folded Reload
	v_fma_mixlo_f16 v50, s21, v53, 0
	v_fma_mixlo_f16 v49, s21, v49, 0
	v_fma_mixhi_f16 v51, s21, v56, 0
	v_fma_mixhi_f16 v50, s21, v55, 0
	v_fma_mixhi_f16 v49, s21, v54, 0
	s_waitcnt vmcnt(0)
	global_store_dwordx4 v52, v[48:51], s[4:5]
.LBB25_40:
	s_or_b32 exec_lo, exec_lo, s6
	v_sub_f32_e32 v52, v129, v184
	v_sub_f32_e32 v53, v131, v185
	v_sub_f32_e32 v54, v133, v186
	v_sub_f32_e32 v48, v147, v187
	v_sub_f32_e32 v50, v148, v188
	v_sub_f32_e32 v49, v149, v189
	v_sub_f32_e32 v55, v150, v190
	v_sub_f32_e32 v51, v151, v191
	v_sub_f32_e32 v64, v192, v200
	v_sub_f32_e32 v65, v193, v201
	v_sub_f32_e32 v66, v194, v202
	v_sub_f32_e32 v56, v195, v203
	v_sub_f32_e32 v58, v196, v204
	v_sub_f32_e32 v57, v197, v205
	v_sub_f32_e32 v67, v198, v206
	v_sub_f32_e32 v59, v199, v207
	s_and_saveexec_b32 s6, s3
	s_cbranch_execz .LBB25_42
; %bb.41:
	v_add_f32_e32 v76, v52, v64
	v_add_f32_e32 v92, v53, v65
	v_add_f32_e32 v77, v54, v66
	v_add_f32_e32 v78, v55, v67
	v_add_f32_e32 v93, v50, v58
	v_fma_mixlo_f16 v76, s21, v76, 0
	v_add_f32_e32 v94, v48, v56
	v_add_f32_e32 v95, v49, v57
	v_add_f32_e32 v129, v51, v59
	v_fma_mixlo_f16 v79, s21, v78, 0
	v_fma_mixhi_f16 v76, s21, v92, 0
	buffer_load_dword v92, off, s[36:39], 0 offset:28 ; 4-byte Folded Reload
	v_fma_mixlo_f16 v78, s21, v93, 0
	v_fma_mixlo_f16 v77, s21, v77, 0
	v_fma_mixhi_f16 v79, s21, v129, 0
	v_fma_mixhi_f16 v78, s21, v95, 0
	v_fma_mixhi_f16 v77, s21, v94, 0
	s_waitcnt vmcnt(0)
	global_store_dwordx4 v92, v[76:79], s[4:5]
.LBB25_42:
	s_or_b32 exec_lo, exec_lo, s6
	v_sub_f32_e32 v76, v146, v60
	v_sub_f32_e32 v77, v208, v61
	v_sub_f32_e32 v78, v209, v62
	v_sub_f32_e32 v79, v210, v63
	v_sub_f32_e32 v60, v211, v68
	v_sub_f32_e32 v61, v212, v69
	v_sub_f32_e32 v62, v213, v70
	v_sub_f32_e32 v63, v214, v71
	v_sub_f32_e32 v92, v72, v84
	v_sub_f32_e32 v93, v73, v85
	v_sub_f32_e32 v94, v74, v86
	v_sub_f32_e32 v95, v75, v87
	v_sub_f32_e32 v72, v80, v88
	v_sub_f32_e32 v73, v81, v89
	v_sub_f32_e32 v74, v82, v90
	v_sub_f32_e32 v75, v83, v91
	;; [unrolled: 40-line block ×4, first 2 shown]
	s_and_saveexec_b32 s0, vcc_lo
	s_cbranch_execnz .LBB25_56
; %bb.47:
	s_or_b32 exec_lo, exec_lo, s0
	s_and_saveexec_b32 s0, s1
	s_cbranch_execnz .LBB25_57
.LBB25_48:
	s_or_b32 exec_lo, exec_lo, s0
	s_and_saveexec_b32 s0, s17
	s_cbranch_execnz .LBB25_58
.LBB25_49:
	s_or_b32 exec_lo, exec_lo, s0
	s_and_saveexec_b32 s0, s8
	s_cbranch_execnz .LBB25_59
.LBB25_50:
	s_or_b32 exec_lo, exec_lo, s0
	s_and_saveexec_b32 s0, s9
	s_cbranch_execnz .LBB25_60
.LBB25_51:
	s_or_b32 exec_lo, exec_lo, s0
	s_and_saveexec_b32 s0, s10
	s_cbranch_execnz .LBB25_61
.LBB25_52:
	s_or_b32 exec_lo, exec_lo, s0
	s_and_saveexec_b32 s0, s11
	s_cbranch_execnz .LBB25_62
.LBB25_53:
	s_or_b32 exec_lo, exec_lo, s0
	s_and_saveexec_b32 s0, s12
	s_cbranch_execnz .LBB25_63
.LBB25_54:
	s_or_b32 exec_lo, exec_lo, s0
	s_and_saveexec_b32 s0, s14
	s_cbranch_execnz .LBB25_64
.LBB25_55:
	s_endpgm
.LBB25_56:
	v_add_f32_e32 v112, v101, v109
	v_add_f32_e32 v116, v100, v108
	;; [unrolled: 1-line block ×5, first 2 shown]
	v_fma_mixlo_f16 v112, s21, v112, 0
	v_add_f32_e32 v118, v102, v110
	v_add_f32_e32 v119, v80, v96
	;; [unrolled: 1-line block ×3, first 2 shown]
	v_fma_mixlo_f16 v115, s21, v114, 0
	v_fma_mixhi_f16 v112, s21, v116, 0
	buffer_load_dword v116, off, s[36:39], 0 offset:8 ; 4-byte Folded Reload
	v_fma_mixlo_f16 v114, s21, v117, 0
	v_fma_mixlo_f16 v113, s21, v113, 0
	v_fma_mixhi_f16 v115, s21, v120, 0
	v_fma_mixhi_f16 v114, s21, v119, 0
	;; [unrolled: 1-line block ×3, first 2 shown]
	s_waitcnt vmcnt(0)
	global_store_dwordx4 v116, v[112:115], s[4:5]
	s_or_b32 exec_lo, exec_lo, s0
	s_and_saveexec_b32 s0, s1
	s_cbranch_execz .LBB25_48
.LBB25_57:
	s_clause 0x1
	buffer_load_dword v112, off, s[36:39], 0 offset:88
	buffer_load_dword v113, off, s[36:39], 0 offset:120
	s_waitcnt vmcnt(0)
	v_sub_f32_e32 v112, v112, v113
	s_clause 0x1
	buffer_load_dword v113, off, s[36:39], 0 offset:92
	buffer_load_dword v114, off, s[36:39], 0 offset:124
	v_fma_mixlo_f16 v112, s21, v112, 0
	s_waitcnt vmcnt(0)
	v_sub_f32_e32 v116, v113, v114
	s_clause 0x1
	buffer_load_dword v113, off, s[36:39], 0 offset:96
	buffer_load_dword v114, off, s[36:39], 0 offset:128
	v_fma_mixhi_f16 v112, s21, v116, 0
	s_waitcnt vmcnt(0)
	v_sub_f32_e32 v113, v113, v114
	s_clause 0x1
	buffer_load_dword v114, off, s[36:39], 0 offset:100
	buffer_load_dword v115, off, s[36:39], 0 offset:132
	v_fma_mixlo_f16 v113, s21, v113, 0
	s_waitcnt vmcnt(0)
	v_sub_f32_e32 v114, v114, v115
	s_clause 0x1
	buffer_load_dword v115, off, s[36:39], 0 offset:80
	buffer_load_dword v117, off, s[36:39], 0 offset:112
	s_waitcnt vmcnt(0)
	v_sub_f32_e32 v117, v115, v117
	s_clause 0x1
	buffer_load_dword v115, off, s[36:39], 0 offset:72
	buffer_load_dword v118, off, s[36:39], 0 offset:104
	;; [unrolled: 5-line block ×3, first 2 shown]
	v_fma_mixhi_f16 v113, s21, v118, 0
	s_waitcnt vmcnt(0)
	v_sub_f32_e32 v119, v115, v119
	s_clause 0x2
	buffer_load_dword v115, off, s[36:39], 0 offset:84
	buffer_load_dword v120, off, s[36:39], 0 offset:116
	;; [unrolled: 1-line block ×3, first 2 shown]
	s_waitcnt vmcnt(1)
	v_sub_f32_e32 v120, v115, v120
	v_fma_mixlo_f16 v115, s21, v114, 0
	v_fma_mixlo_f16 v114, s21, v117, 0
	v_fma_mixhi_f16 v115, s21, v120, 0
	v_fma_mixhi_f16 v114, s21, v119, 0
	s_waitcnt vmcnt(0)
	global_store_dwordx4 v116, v[112:115], s[4:5]
	s_or_b32 exec_lo, exec_lo, s0
	s_and_saveexec_b32 s0, s17
	s_cbranch_execz .LBB25_49
.LBB25_58:
	v_sub_f32_e32 v4, v4, v12
	v_sub_f32_e32 v8, v0, v8
	v_sub_f32_e32 v6, v6, v14
	v_sub_f32_e32 v7, v7, v15
	v_sub_f32_e32 v2, v2, v10
	v_fma_mixlo_f16 v0, s21, v4, 0
	buffer_load_dword v4, off, s[36:39], 0 offset:24 ; 4-byte Folded Reload
	v_sub_f32_e32 v5, v5, v13
	v_sub_f32_e32 v9, v1, v9
	v_sub_f32_e32 v10, v3, v11
	v_fma_mixlo_f16 v3, s21, v7, 0
	v_fma_mixlo_f16 v2, s21, v2, 0
	;; [unrolled: 1-line block ×3, first 2 shown]
	v_fma_mixhi_f16 v0, s21, v5, 0
	v_fma_mixhi_f16 v3, s21, v10, 0
	;; [unrolled: 1-line block ×4, first 2 shown]
	s_waitcnt vmcnt(0)
	global_store_dwordx4 v4, v[0:3], s[4:5]
	s_or_b32 exec_lo, exec_lo, s0
	s_and_saveexec_b32 s0, s8
	s_cbranch_execz .LBB25_50
.LBB25_59:
	v_sub_f32_e32 v0, v20, v28
	v_sub_f32_e32 v4, v21, v29
	;; [unrolled: 1-line block ×5, first 2 shown]
	v_fma_mixlo_f16 v0, s21, v0, 0
	v_sub_f32_e32 v6, v16, v24
	v_sub_f32_e32 v7, v17, v25
	;; [unrolled: 1-line block ×3, first 2 shown]
	v_fma_mixlo_f16 v3, s21, v2, 0
	v_fma_mixhi_f16 v0, s21, v4, 0
	buffer_load_dword v4, off, s[36:39], 0 offset:36 ; 4-byte Folded Reload
	v_fma_mixlo_f16 v2, s21, v5, 0
	v_fma_mixlo_f16 v1, s21, v1, 0
	v_fma_mixhi_f16 v3, s21, v8, 0
	v_fma_mixhi_f16 v2, s21, v7, 0
	;; [unrolled: 1-line block ×3, first 2 shown]
	s_waitcnt vmcnt(0)
	global_store_dwordx4 v4, v[0:3], s[4:5]
	s_or_b32 exec_lo, exec_lo, s0
	s_and_saveexec_b32 s0, s9
	s_cbranch_execz .LBB25_51
.LBB25_60:
	v_sub_f32_e32 v0, v36, v44
	v_sub_f32_e32 v4, v37, v45
	;; [unrolled: 1-line block ×5, first 2 shown]
	v_fma_mixlo_f16 v0, s21, v0, 0
	v_sub_f32_e32 v6, v32, v40
	v_sub_f32_e32 v7, v33, v41
	;; [unrolled: 1-line block ×3, first 2 shown]
	v_fma_mixlo_f16 v3, s21, v2, 0
	v_fma_mixhi_f16 v0, s21, v4, 0
	buffer_load_dword v4, off, s[36:39], 0 offset:40 ; 4-byte Folded Reload
	v_fma_mixlo_f16 v2, s21, v5, 0
	v_fma_mixlo_f16 v1, s21, v1, 0
	v_fma_mixhi_f16 v3, s21, v8, 0
	v_fma_mixhi_f16 v2, s21, v7, 0
	;; [unrolled: 1-line block ×3, first 2 shown]
	s_waitcnt vmcnt(0)
	global_store_dwordx4 v4, v[0:3], s[4:5]
	s_or_b32 exec_lo, exec_lo, s0
	s_and_saveexec_b32 s0, s10
	s_cbranch_execz .LBB25_52
.LBB25_61:
	v_sub_f32_e32 v0, v52, v64
	v_sub_f32_e32 v4, v53, v65
	v_sub_f32_e32 v1, v54, v66
	v_sub_f32_e32 v2, v55, v67
	v_sub_f32_e32 v5, v50, v58
	v_fma_mixlo_f16 v0, s21, v0, 0
	v_sub_f32_e32 v6, v48, v56
	v_sub_f32_e32 v7, v49, v57
	;; [unrolled: 1-line block ×3, first 2 shown]
	v_fma_mixlo_f16 v3, s21, v2, 0
	v_fma_mixhi_f16 v0, s21, v4, 0
	buffer_load_dword v4, off, s[36:39], 0 offset:44 ; 4-byte Folded Reload
	v_fma_mixlo_f16 v2, s21, v5, 0
	v_fma_mixlo_f16 v1, s21, v1, 0
	v_fma_mixhi_f16 v3, s21, v8, 0
	v_fma_mixhi_f16 v2, s21, v7, 0
	;; [unrolled: 1-line block ×3, first 2 shown]
	s_waitcnt vmcnt(0)
	global_store_dwordx4 v4, v[0:3], s[4:5]
	s_or_b32 exec_lo, exec_lo, s0
	s_and_saveexec_b32 s0, s11
	s_cbranch_execz .LBB25_53
.LBB25_62:
	s_clause 0x1
	buffer_load_dword v2, off, s[36:39], 0 offset:48
	buffer_load_dword v3, off, s[36:39], 0 offset:52
	v_mov_b32_e32 v5, 0
	v_sub_f32_e32 v0, v76, v92
	v_sub_f32_e32 v1, v78, v94
	s_waitcnt vmcnt(0)
	v_sub_f32_e32 v3, v62, v74
	v_sub_f32_e32 v6, v77, v93
	v_sub_f32_e32 v7, v79, v95
	v_sub_f32_e32 v8, v61, v73
	v_sub_f32_e32 v9, v63, v75
	v_fma_mixlo_f16 v0, s21, v0, 0
	v_fma_mixlo_f16 v1, s21, v1, 0
	;; [unrolled: 1-line block ×3, first 2 shown]
	v_fma_mixhi_f16 v0, s21, v6, 0
	v_fma_mixhi_f16 v1, s21, v7, 0
	v_fma_mixhi_f16 v3, s21, v9, 0
	v_mov_b32_e32 v4, v2
	v_sub_f32_e32 v2, v60, v72
	v_lshlrev_b64 v[4:5], 4, v[4:5]
	v_fma_mixlo_f16 v2, s21, v2, 0
	v_fma_mixhi_f16 v2, s21, v8, 0
	v_add_co_u32 v4, vcc_lo, s4, v4
	v_add_co_ci_u32_e64 v5, null, s5, v5, vcc_lo
	global_store_dwordx4 v[4:5], v[0:3], off
	s_or_b32 exec_lo, exec_lo, s0
	s_and_saveexec_b32 s0, s12
	s_cbranch_execz .LBB25_54
.LBB25_63:
	s_clause 0x1
	buffer_load_dword v2, off, s[36:39], 0 offset:56
	buffer_load_dword v3, off, s[36:39], 0 offset:60
	v_mov_b32_e32 v5, 0
	v_sub_f32_e32 v0, v88, v104
	v_sub_f32_e32 v1, v90, v106
	s_waitcnt vmcnt(0)
	v_sub_f32_e32 v3, v70, v86
	v_sub_f32_e32 v6, v89, v105
	v_sub_f32_e32 v7, v91, v107
	v_sub_f32_e32 v8, v69, v85
	v_sub_f32_e32 v9, v71, v87
	v_fma_mixlo_f16 v0, s21, v0, 0
	v_fma_mixlo_f16 v1, s21, v1, 0
	;; [unrolled: 1-line block ×3, first 2 shown]
	v_fma_mixhi_f16 v0, s21, v6, 0
	v_fma_mixhi_f16 v1, s21, v7, 0
	;; [unrolled: 1-line block ×3, first 2 shown]
	v_mov_b32_e32 v4, v2
	v_sub_f32_e32 v2, v68, v84
	v_lshlrev_b64 v[4:5], 4, v[4:5]
	v_fma_mixlo_f16 v2, s21, v2, 0
	v_fma_mixhi_f16 v2, s21, v8, 0
	v_add_co_u32 v4, vcc_lo, s4, v4
	v_add_co_ci_u32_e64 v5, null, s5, v5, vcc_lo
	global_store_dwordx4 v[4:5], v[0:3], off
	s_or_b32 exec_lo, exec_lo, s0
	s_and_saveexec_b32 s0, s14
	s_cbranch_execz .LBB25_55
.LBB25_64:
	s_clause 0x1
	buffer_load_dword v2, off, s[36:39], 0
	buffer_load_dword v3, off, s[36:39], 0 offset:4
	v_mov_b32_e32 v5, 0
	v_sub_f32_e32 v0, v101, v109
	v_sub_f32_e32 v1, v103, v111
	s_waitcnt vmcnt(0)
	v_sub_f32_e32 v3, v83, v99
	v_sub_f32_e32 v6, v100, v108
	;; [unrolled: 1-line block ×5, first 2 shown]
	v_fma_mixlo_f16 v0, s21, v0, 0
	v_fma_mixlo_f16 v1, s21, v1, 0
	;; [unrolled: 1-line block ×3, first 2 shown]
	v_fma_mixhi_f16 v0, s21, v6, 0
	v_fma_mixhi_f16 v1, s21, v7, 0
	;; [unrolled: 1-line block ×3, first 2 shown]
	v_mov_b32_e32 v4, v2
	v_sub_f32_e32 v2, v81, v97
	v_lshlrev_b64 v[4:5], 4, v[4:5]
	v_fma_mixlo_f16 v2, s21, v2, 0
	v_fma_mixhi_f16 v2, s21, v8, 0
	v_add_co_u32 v4, vcc_lo, s4, v4
	v_add_co_ci_u32_e64 v5, null, s5, v5, vcc_lo
	global_store_dwordx4 v[4:5], v[0:3], off
	s_endpgm
	.section	.rodata,"a",@progbits
	.p2align	6, 0x0
	.amdhsa_kernel _Z30fast_hadamard_transform_kernelI37fast_hadamard_transform_kernel_traitsILi256ELi15E6__halfEEv18HadamardParamsBase
		.amdhsa_group_segment_fixed_size 0
		.amdhsa_private_segment_fixed_size 140
		.amdhsa_kernarg_size 312
		.amdhsa_user_sgpr_count 6
		.amdhsa_user_sgpr_private_segment_buffer 1
		.amdhsa_user_sgpr_dispatch_ptr 0
		.amdhsa_user_sgpr_queue_ptr 0
		.amdhsa_user_sgpr_kernarg_segment_ptr 1
		.amdhsa_user_sgpr_dispatch_id 0
		.amdhsa_user_sgpr_flat_scratch_init 0
		.amdhsa_user_sgpr_private_segment_size 0
		.amdhsa_wavefront_size32 1
		.amdhsa_uses_dynamic_stack 0
		.amdhsa_system_sgpr_private_segment_wavefront_offset 1
		.amdhsa_system_sgpr_workgroup_id_x 1
		.amdhsa_system_sgpr_workgroup_id_y 0
		.amdhsa_system_sgpr_workgroup_id_z 0
		.amdhsa_system_sgpr_workgroup_info 0
		.amdhsa_system_vgpr_workitem_id 0
		.amdhsa_next_free_vgpr 256
		.amdhsa_next_free_sgpr 40
		.amdhsa_reserve_vcc 1
		.amdhsa_reserve_flat_scratch 0
		.amdhsa_float_round_mode_32 0
		.amdhsa_float_round_mode_16_64 0
		.amdhsa_float_denorm_mode_32 3
		.amdhsa_float_denorm_mode_16_64 3
		.amdhsa_dx10_clamp 1
		.amdhsa_ieee_mode 1
		.amdhsa_fp16_overflow 0
		.amdhsa_workgroup_processor_mode 1
		.amdhsa_memory_ordered 1
		.amdhsa_forward_progress 1
		.amdhsa_shared_vgpr_count 0
		.amdhsa_exception_fp_ieee_invalid_op 0
		.amdhsa_exception_fp_denorm_src 0
		.amdhsa_exception_fp_ieee_div_zero 0
		.amdhsa_exception_fp_ieee_overflow 0
		.amdhsa_exception_fp_ieee_underflow 0
		.amdhsa_exception_fp_ieee_inexact 0
		.amdhsa_exception_int_div_zero 0
	.end_amdhsa_kernel
	.section	.text._Z30fast_hadamard_transform_kernelI37fast_hadamard_transform_kernel_traitsILi256ELi15E6__halfEEv18HadamardParamsBase,"axG",@progbits,_Z30fast_hadamard_transform_kernelI37fast_hadamard_transform_kernel_traitsILi256ELi15E6__halfEEv18HadamardParamsBase,comdat
.Lfunc_end25:
	.size	_Z30fast_hadamard_transform_kernelI37fast_hadamard_transform_kernel_traitsILi256ELi15E6__halfEEv18HadamardParamsBase, .Lfunc_end25-_Z30fast_hadamard_transform_kernelI37fast_hadamard_transform_kernel_traitsILi256ELi15E6__halfEEv18HadamardParamsBase
                                        ; -- End function
	.set _Z30fast_hadamard_transform_kernelI37fast_hadamard_transform_kernel_traitsILi256ELi15E6__halfEEv18HadamardParamsBase.num_vgpr, 256
	.set _Z30fast_hadamard_transform_kernelI37fast_hadamard_transform_kernel_traitsILi256ELi15E6__halfEEv18HadamardParamsBase.num_agpr, 0
	.set _Z30fast_hadamard_transform_kernelI37fast_hadamard_transform_kernel_traitsILi256ELi15E6__halfEEv18HadamardParamsBase.numbered_sgpr, 40
	.set _Z30fast_hadamard_transform_kernelI37fast_hadamard_transform_kernel_traitsILi256ELi15E6__halfEEv18HadamardParamsBase.num_named_barrier, 0
	.set _Z30fast_hadamard_transform_kernelI37fast_hadamard_transform_kernel_traitsILi256ELi15E6__halfEEv18HadamardParamsBase.private_seg_size, 140
	.set _Z30fast_hadamard_transform_kernelI37fast_hadamard_transform_kernel_traitsILi256ELi15E6__halfEEv18HadamardParamsBase.uses_vcc, 1
	.set _Z30fast_hadamard_transform_kernelI37fast_hadamard_transform_kernel_traitsILi256ELi15E6__halfEEv18HadamardParamsBase.uses_flat_scratch, 0
	.set _Z30fast_hadamard_transform_kernelI37fast_hadamard_transform_kernel_traitsILi256ELi15E6__halfEEv18HadamardParamsBase.has_dyn_sized_stack, 0
	.set _Z30fast_hadamard_transform_kernelI37fast_hadamard_transform_kernel_traitsILi256ELi15E6__halfEEv18HadamardParamsBase.has_recursion, 0
	.set _Z30fast_hadamard_transform_kernelI37fast_hadamard_transform_kernel_traitsILi256ELi15E6__halfEEv18HadamardParamsBase.has_indirect_call, 0
	.section	.AMDGPU.csdata,"",@progbits
; Kernel info:
; codeLenInByte = 33960
; TotalNumSgprs: 42
; NumVgprs: 256
; ScratchSize: 140
; MemoryBound: 0
; FloatMode: 240
; IeeeMode: 1
; LDSByteSize: 0 bytes/workgroup (compile time only)
; SGPRBlocks: 0
; VGPRBlocks: 31
; NumSGPRsForWavesPerEU: 42
; NumVGPRsForWavesPerEU: 256
; Occupancy: 4
; WaveLimiterHint : 0
; COMPUTE_PGM_RSRC2:SCRATCH_EN: 1
; COMPUTE_PGM_RSRC2:USER_SGPR: 6
; COMPUTE_PGM_RSRC2:TRAP_HANDLER: 0
; COMPUTE_PGM_RSRC2:TGID_X_EN: 1
; COMPUTE_PGM_RSRC2:TGID_Y_EN: 0
; COMPUTE_PGM_RSRC2:TGID_Z_EN: 0
; COMPUTE_PGM_RSRC2:TIDIG_COMP_CNT: 0
	.section	.text._Z30fast_hadamard_transform_kernelI37fast_hadamard_transform_kernel_traitsILi1ELi3E14__hip_bfloat16EEv18HadamardParamsBase,"axG",@progbits,_Z30fast_hadamard_transform_kernelI37fast_hadamard_transform_kernel_traitsILi1ELi3E14__hip_bfloat16EEv18HadamardParamsBase,comdat
	.protected	_Z30fast_hadamard_transform_kernelI37fast_hadamard_transform_kernel_traitsILi1ELi3E14__hip_bfloat16EEv18HadamardParamsBase ; -- Begin function _Z30fast_hadamard_transform_kernelI37fast_hadamard_transform_kernel_traitsILi1ELi3E14__hip_bfloat16EEv18HadamardParamsBase
	.globl	_Z30fast_hadamard_transform_kernelI37fast_hadamard_transform_kernel_traitsILi1ELi3E14__hip_bfloat16EEv18HadamardParamsBase
	.p2align	8
	.type	_Z30fast_hadamard_transform_kernelI37fast_hadamard_transform_kernel_traitsILi1ELi3E14__hip_bfloat16EEv18HadamardParamsBase,@function
_Z30fast_hadamard_transform_kernelI37fast_hadamard_transform_kernel_traitsILi1ELi3E14__hip_bfloat16EEv18HadamardParamsBase: ; @_Z30fast_hadamard_transform_kernelI37fast_hadamard_transform_kernel_traitsILi1ELi3E14__hip_bfloat16EEv18HadamardParamsBase
; %bb.0:
	s_load_dword s0, s[4:5], 0x4
	s_waitcnt lgkmcnt(0)
	s_cmp_eq_u32 s0, 0
	s_cbranch_scc1 .LBB26_2
; %bb.1:
	s_clause 0x2
	s_load_dwordx4 s[8:11], s[4:5], 0x10
	s_load_dwordx4 s[12:15], s[4:5], 0x28
	s_load_dword s16, s[4:5], 0x20
	s_ashr_i32 s2, s6, 31
	s_waitcnt lgkmcnt(0)
	s_mul_hi_u32 s1, s10, s6
	s_mul_i32 s3, s10, s2
	s_mul_i32 s4, s11, s6
	s_add_i32 s1, s1, s3
	s_mul_i32 s0, s10, s6
	s_add_i32 s1, s1, s4
	s_mul_hi_u32 s3, s8, s6
	s_lshl_b64 s[0:1], s[0:1], 1
	s_mul_i32 s2, s8, s2
	s_add_u32 s0, s14, s0
	s_mul_i32 s4, s9, s6
	s_addc_u32 s1, s15, s1
	s_add_i32 s3, s3, s2
	s_mul_i32 s2, s8, s6
	s_add_i32 s3, s3, s4
	s_lshl_b64 s[2:3], s[2:3], 1
	s_add_u32 s2, s12, s2
	s_addc_u32 s3, s13, s3
	s_load_dwordx4 s[4:7], s[2:3], 0x0
	s_waitcnt lgkmcnt(0)
	s_lshl_b32 s2, s4, 16
	s_and_b32 s3, s4, 0xffff0000
	s_lshl_b32 s4, s5, 16
	s_and_b32 s5, s5, 0xffff0000
	s_lshl_b32 s8, s6, 16
	s_and_b32 s6, s6, 0xffff0000
	s_lshl_b32 s9, s7, 16
	s_and_b32 s7, s7, 0xffff0000
	v_sub_f32_e64 v0, s2, s3
	v_sub_f32_e64 v1, s4, s5
	;; [unrolled: 1-line block ×4, first 2 shown]
	v_add_f32_e64 v4, s2, s3
	v_add_f32_e64 v5, s4, s5
	;; [unrolled: 1-line block ×4, first 2 shown]
	v_sub_f32_e32 v8, v0, v1
	v_sub_f32_e32 v9, v2, v3
	;; [unrolled: 1-line block ×3, first 2 shown]
	v_add_f32_e32 v0, v0, v1
	v_sub_f32_e32 v11, v6, v7
	v_add_f32_e32 v1, v2, v3
	v_add_f32_e32 v2, v4, v5
	;; [unrolled: 1-line block ×3, first 2 shown]
	v_sub_f32_e32 v4, v8, v9
	v_add_f32_e32 v5, v8, v9
	v_sub_f32_e32 v6, v10, v11
	v_sub_f32_e32 v8, v0, v1
	v_add_f32_e32 v0, v0, v1
	v_sub_f32_e32 v1, v2, v3
	v_add_f32_e32 v2, v2, v3
	v_mul_f32_e32 v3, s16, v4
	v_mul_f32_e32 v4, s16, v6
	;; [unrolled: 1-line block ×3, first 2 shown]
	v_add_f32_e32 v7, v10, v11
	v_mul_f32_e32 v5, s16, v5
	v_bfe_u32 v8, v3, 16, 1
	v_bfe_u32 v10, v4, 16, 1
	v_or_b32_e32 v9, 0x400000, v3
	v_bfe_u32 v12, v6, 16, 1
	v_cmp_u_f32_e32 vcc_lo, v3, v3
	v_add_nc_u32_e32 v8, v8, v3
	v_add_nc_u32_e32 v10, v10, v4
	v_mul_f32_e32 v1, s16, v1
	v_or_b32_e32 v11, 0x400000, v4
	v_bfe_u32 v16, v5, 16, 1
	v_add_nc_u32_e32 v8, 0x7fff, v8
	v_add_nc_u32_e32 v12, v12, v6
	v_add_nc_u32_e32 v10, 0x7fff, v10
	v_mul_f32_e32 v0, s16, v0
	v_or_b32_e32 v13, 0x400000, v6
	v_cndmask_b32_e32 v3, v8, v9, vcc_lo
	v_cmp_u_f32_e32 vcc_lo, v4, v4
	v_bfe_u32 v14, v1, 16, 1
	v_add_nc_u32_e32 v16, v16, v5
	v_add_nc_u32_e32 v12, 0x7fff, v12
	v_mul_f32_e32 v7, s16, v7
	v_cndmask_b32_e32 v4, v10, v11, vcc_lo
	v_cmp_u_f32_e32 vcc_lo, v6, v6
	v_or_b32_e32 v17, 0x400000, v5
	v_bfe_u32 v19, v0, 16, 1
	v_add_nc_u32_e32 v14, v14, v1
	v_add_nc_u32_e32 v16, 0x7fff, v16
	v_cndmask_b32_e32 v6, v12, v13, vcc_lo
	v_cmp_u_f32_e32 vcc_lo, v5, v5
	v_mul_f32_e32 v2, s16, v2
	v_or_b32_e32 v15, 0x400000, v1
	v_bfe_u32 v18, v7, 16, 1
	v_add_nc_u32_e32 v19, v19, v0
	v_add_nc_u32_e32 v14, 0x7fff, v14
	v_cndmask_b32_e32 v5, v16, v17, vcc_lo
	v_cmp_u_f32_e32 vcc_lo, v1, v1
	v_bfe_u32 v20, v2, 16, 1
	v_add_nc_u32_e32 v18, v18, v7
	v_add_nc_u32_e32 v8, 0x7fff, v19
	v_or_b32_e32 v9, 0x400000, v0
	v_cndmask_b32_e32 v1, v14, v15, vcc_lo
	v_cmp_u_f32_e32 vcc_lo, v0, v0
	v_add_nc_u32_e32 v10, v20, v2
	v_add_nc_u32_e32 v11, 0x7fff, v18
	v_or_b32_e32 v12, 0x400000, v7
	v_lshrrev_b32_e32 v3, 16, v3
	v_cndmask_b32_e32 v0, v8, v9, vcc_lo
	v_cmp_u_f32_e32 vcc_lo, v7, v7
	v_add_nc_u32_e32 v8, 0x7fff, v10
	v_or_b32_e32 v9, 0x400000, v2
	v_mov_b32_e32 v10, 0xffff
	v_lshrrev_b32_e32 v6, 16, v6
	v_cndmask_b32_e32 v7, v11, v12, vcc_lo
	v_cmp_u_f32_e32 vcc_lo, v2, v2
	v_lshrrev_b32_e32 v5, 16, v5
	v_lshrrev_b32_e32 v0, 16, v0
	v_and_b32_sdwa v4, v10, v4 dst_sel:DWORD dst_unused:UNUSED_PAD src0_sel:DWORD src1_sel:WORD_1
	v_and_b32_sdwa v1, v10, v1 dst_sel:DWORD dst_unused:UNUSED_PAD src0_sel:DWORD src1_sel:WORD_1
	v_cndmask_b32_e32 v2, v8, v9, vcc_lo
	v_and_b32_sdwa v7, v10, v7 dst_sel:DWORD dst_unused:UNUSED_PAD src0_sel:DWORD src1_sel:WORD_1
	v_mov_b32_e32 v9, 0
	v_lshl_or_b32 v3, v3, 16, v4
	v_and_b32_sdwa v8, v10, v2 dst_sel:DWORD dst_unused:UNUSED_PAD src0_sel:DWORD src1_sel:WORD_1
	v_lshl_or_b32 v2, v6, 16, v1
	v_lshl_or_b32 v1, v5, 16, v7
	;; [unrolled: 1-line block ×3, first 2 shown]
	global_store_dwordx4 v9, v[0:3], s[0:1]
.LBB26_2:
	s_endpgm
	.section	.rodata,"a",@progbits
	.p2align	6, 0x0
	.amdhsa_kernel _Z30fast_hadamard_transform_kernelI37fast_hadamard_transform_kernel_traitsILi1ELi3E14__hip_bfloat16EEv18HadamardParamsBase
		.amdhsa_group_segment_fixed_size 0
		.amdhsa_private_segment_fixed_size 0
		.amdhsa_kernarg_size 56
		.amdhsa_user_sgpr_count 6
		.amdhsa_user_sgpr_private_segment_buffer 1
		.amdhsa_user_sgpr_dispatch_ptr 0
		.amdhsa_user_sgpr_queue_ptr 0
		.amdhsa_user_sgpr_kernarg_segment_ptr 1
		.amdhsa_user_sgpr_dispatch_id 0
		.amdhsa_user_sgpr_flat_scratch_init 0
		.amdhsa_user_sgpr_private_segment_size 0
		.amdhsa_wavefront_size32 1
		.amdhsa_uses_dynamic_stack 0
		.amdhsa_system_sgpr_private_segment_wavefront_offset 0
		.amdhsa_system_sgpr_workgroup_id_x 1
		.amdhsa_system_sgpr_workgroup_id_y 0
		.amdhsa_system_sgpr_workgroup_id_z 0
		.amdhsa_system_sgpr_workgroup_info 0
		.amdhsa_system_vgpr_workitem_id 0
		.amdhsa_next_free_vgpr 21
		.amdhsa_next_free_sgpr 17
		.amdhsa_reserve_vcc 1
		.amdhsa_reserve_flat_scratch 0
		.amdhsa_float_round_mode_32 0
		.amdhsa_float_round_mode_16_64 0
		.amdhsa_float_denorm_mode_32 3
		.amdhsa_float_denorm_mode_16_64 3
		.amdhsa_dx10_clamp 1
		.amdhsa_ieee_mode 1
		.amdhsa_fp16_overflow 0
		.amdhsa_workgroup_processor_mode 1
		.amdhsa_memory_ordered 1
		.amdhsa_forward_progress 1
		.amdhsa_shared_vgpr_count 0
		.amdhsa_exception_fp_ieee_invalid_op 0
		.amdhsa_exception_fp_denorm_src 0
		.amdhsa_exception_fp_ieee_div_zero 0
		.amdhsa_exception_fp_ieee_overflow 0
		.amdhsa_exception_fp_ieee_underflow 0
		.amdhsa_exception_fp_ieee_inexact 0
		.amdhsa_exception_int_div_zero 0
	.end_amdhsa_kernel
	.section	.text._Z30fast_hadamard_transform_kernelI37fast_hadamard_transform_kernel_traitsILi1ELi3E14__hip_bfloat16EEv18HadamardParamsBase,"axG",@progbits,_Z30fast_hadamard_transform_kernelI37fast_hadamard_transform_kernel_traitsILi1ELi3E14__hip_bfloat16EEv18HadamardParamsBase,comdat
.Lfunc_end26:
	.size	_Z30fast_hadamard_transform_kernelI37fast_hadamard_transform_kernel_traitsILi1ELi3E14__hip_bfloat16EEv18HadamardParamsBase, .Lfunc_end26-_Z30fast_hadamard_transform_kernelI37fast_hadamard_transform_kernel_traitsILi1ELi3E14__hip_bfloat16EEv18HadamardParamsBase
                                        ; -- End function
	.set _Z30fast_hadamard_transform_kernelI37fast_hadamard_transform_kernel_traitsILi1ELi3E14__hip_bfloat16EEv18HadamardParamsBase.num_vgpr, 21
	.set _Z30fast_hadamard_transform_kernelI37fast_hadamard_transform_kernel_traitsILi1ELi3E14__hip_bfloat16EEv18HadamardParamsBase.num_agpr, 0
	.set _Z30fast_hadamard_transform_kernelI37fast_hadamard_transform_kernel_traitsILi1ELi3E14__hip_bfloat16EEv18HadamardParamsBase.numbered_sgpr, 17
	.set _Z30fast_hadamard_transform_kernelI37fast_hadamard_transform_kernel_traitsILi1ELi3E14__hip_bfloat16EEv18HadamardParamsBase.num_named_barrier, 0
	.set _Z30fast_hadamard_transform_kernelI37fast_hadamard_transform_kernel_traitsILi1ELi3E14__hip_bfloat16EEv18HadamardParamsBase.private_seg_size, 0
	.set _Z30fast_hadamard_transform_kernelI37fast_hadamard_transform_kernel_traitsILi1ELi3E14__hip_bfloat16EEv18HadamardParamsBase.uses_vcc, 1
	.set _Z30fast_hadamard_transform_kernelI37fast_hadamard_transform_kernel_traitsILi1ELi3E14__hip_bfloat16EEv18HadamardParamsBase.uses_flat_scratch, 0
	.set _Z30fast_hadamard_transform_kernelI37fast_hadamard_transform_kernel_traitsILi1ELi3E14__hip_bfloat16EEv18HadamardParamsBase.has_dyn_sized_stack, 0
	.set _Z30fast_hadamard_transform_kernelI37fast_hadamard_transform_kernel_traitsILi1ELi3E14__hip_bfloat16EEv18HadamardParamsBase.has_recursion, 0
	.set _Z30fast_hadamard_transform_kernelI37fast_hadamard_transform_kernel_traitsILi1ELi3E14__hip_bfloat16EEv18HadamardParamsBase.has_indirect_call, 0
	.section	.AMDGPU.csdata,"",@progbits
; Kernel info:
; codeLenInByte = 740
; TotalNumSgprs: 19
; NumVgprs: 21
; ScratchSize: 0
; MemoryBound: 0
; FloatMode: 240
; IeeeMode: 1
; LDSByteSize: 0 bytes/workgroup (compile time only)
; SGPRBlocks: 0
; VGPRBlocks: 2
; NumSGPRsForWavesPerEU: 19
; NumVGPRsForWavesPerEU: 21
; Occupancy: 16
; WaveLimiterHint : 0
; COMPUTE_PGM_RSRC2:SCRATCH_EN: 0
; COMPUTE_PGM_RSRC2:USER_SGPR: 6
; COMPUTE_PGM_RSRC2:TRAP_HANDLER: 0
; COMPUTE_PGM_RSRC2:TGID_X_EN: 1
; COMPUTE_PGM_RSRC2:TGID_Y_EN: 0
; COMPUTE_PGM_RSRC2:TGID_Z_EN: 0
; COMPUTE_PGM_RSRC2:TIDIG_COMP_CNT: 0
	.section	.text._Z30fast_hadamard_transform_kernelI37fast_hadamard_transform_kernel_traitsILi2ELi4E14__hip_bfloat16EEv18HadamardParamsBase,"axG",@progbits,_Z30fast_hadamard_transform_kernelI37fast_hadamard_transform_kernel_traitsILi2ELi4E14__hip_bfloat16EEv18HadamardParamsBase,comdat
	.protected	_Z30fast_hadamard_transform_kernelI37fast_hadamard_transform_kernel_traitsILi2ELi4E14__hip_bfloat16EEv18HadamardParamsBase ; -- Begin function _Z30fast_hadamard_transform_kernelI37fast_hadamard_transform_kernel_traitsILi2ELi4E14__hip_bfloat16EEv18HadamardParamsBase
	.globl	_Z30fast_hadamard_transform_kernelI37fast_hadamard_transform_kernel_traitsILi2ELi4E14__hip_bfloat16EEv18HadamardParamsBase
	.p2align	8
	.type	_Z30fast_hadamard_transform_kernelI37fast_hadamard_transform_kernel_traitsILi2ELi4E14__hip_bfloat16EEv18HadamardParamsBase,@function
_Z30fast_hadamard_transform_kernelI37fast_hadamard_transform_kernel_traitsILi2ELi4E14__hip_bfloat16EEv18HadamardParamsBase: ; @_Z30fast_hadamard_transform_kernelI37fast_hadamard_transform_kernel_traitsILi2ELi4E14__hip_bfloat16EEv18HadamardParamsBase
; %bb.0:
	s_load_dword s0, s[4:5], 0x4
	v_lshlrev_b32_e32 v9, 3, v0
	v_mov_b32_e32 v2, 0
	v_mov_b32_e32 v3, 0
	;; [unrolled: 1-line block ×7, first 2 shown]
	v_lshlrev_b32_e32 v1, 4, v0
	s_ashr_i32 s2, s6, 31
	s_waitcnt lgkmcnt(0)
	v_cmp_gt_u32_e32 vcc_lo, s0, v9
	v_mov_b32_e32 v9, 0
	s_and_saveexec_b32 s0, vcc_lo
	s_cbranch_execz .LBB27_2
; %bb.1:
	s_clause 0x1
	s_load_dwordx2 s[8:9], s[4:5], 0x10
	s_load_dwordx2 s[10:11], s[4:5], 0x28
	s_waitcnt lgkmcnt(0)
	s_mul_i32 s1, s8, s2
	s_mul_hi_u32 s3, s8, s6
	s_mul_i32 s7, s9, s6
	s_add_i32 s1, s3, s1
	s_mul_i32 s8, s8, s6
	s_add_i32 s9, s1, s7
	s_lshl_b64 s[8:9], s[8:9], 1
	s_add_u32 s8, s10, s8
	s_addc_u32 s9, s11, s9
	global_load_dwordx4 v[10:13], v1, s[8:9]
	s_waitcnt vmcnt(0)
	v_lshlrev_b32_e32 v9, 16, v10
	v_and_b32_e32 v8, 0xffff0000, v10
	v_lshlrev_b32_e32 v7, 16, v11
	v_and_b32_e32 v6, 0xffff0000, v11
	v_lshlrev_b32_e32 v5, 16, v12
	v_and_b32_e32 v4, 0xffff0000, v12
	v_lshlrev_b32_e32 v3, 16, v13
	v_and_b32_e32 v2, 0xffff0000, v13
.LBB27_2:
	s_or_b32 exec_lo, exec_lo, s0
	v_add_f32_e32 v10, v8, v9
	v_sub_f32_e32 v8, v9, v8
	v_add_f32_e32 v9, v6, v7
	v_sub_f32_e32 v6, v7, v6
	;; [unrolled: 2-line block ×4, first 2 shown]
	v_mbcnt_lo_u32_b32 v3, -1, 0
	v_add_f32_e32 v11, v9, v10
	v_sub_f32_e32 v10, v10, v9
	v_add_f32_e32 v9, v6, v8
	v_sub_f32_e32 v6, v8, v6
	v_xor_b32_e32 v8, 1, v3
	v_add_f32_e32 v12, v5, v7
	v_sub_f32_e32 v5, v7, v5
	v_add_f32_e32 v7, v2, v4
	v_sub_f32_e32 v14, v4, v2
	v_cmp_gt_i32_e64 s0, 32, v8
	v_add_f32_e32 v2, v12, v11
	v_sub_f32_e32 v15, v10, v5
	v_add_f32_e32 v4, v7, v9
	v_add_f32_e32 v13, v14, v6
	v_cndmask_b32_e64 v3, v3, v8, s0
	v_sub_f32_e32 v8, v11, v12
	v_sub_f32_e32 v12, v9, v7
	v_add_f32_e32 v9, v5, v10
	v_sub_f32_e32 v16, v6, v14
	v_lshlrev_b32_e32 v17, 2, v3
	ds_bpermute_b32 v3, v17, v2
	ds_bpermute_b32 v5, v17, v4
	;; [unrolled: 1-line block ×8, first 2 shown]
	s_and_saveexec_b32 s0, vcc_lo
	s_cbranch_execz .LBB27_4
; %bb.3:
	s_clause 0x2
	s_load_dword s7, s[4:5], 0x20
	s_load_dwordx2 s[8:9], s[4:5], 0x18
	s_load_dwordx2 s[0:1], s[4:5], 0x30
	v_cmp_eq_u32_e32 vcc_lo, 0, v0
	v_cndmask_b32_e64 v0, -v16, v16, vcc_lo
	v_cndmask_b32_e64 v15, -v15, v15, vcc_lo
	;; [unrolled: 1-line block ×5, first 2 shown]
	s_waitcnt lgkmcnt(0)
	v_add_f32_e32 v0, v0, v17
	v_add_f32_e32 v14, v15, v14
	v_cndmask_b32_e64 v8, -v8, v8, vcc_lo
	v_cndmask_b32_e64 v9, -v9, v9, vcc_lo
	v_add_f32_e32 v11, v12, v11
	v_add_f32_e32 v4, v4, v5
	;; [unrolled: 1-line block ×3, first 2 shown]
	v_mul_f32_e32 v0, s7, v0
	v_mul_f32_e32 v3, s7, v14
	v_cndmask_b32_e64 v13, -v13, v13, vcc_lo
	v_add_f32_e32 v8, v8, v10
	v_add_f32_e32 v6, v9, v6
	v_bfe_u32 v5, v0, 16, 1
	v_bfe_u32 v9, v3, 16, 1
	v_mul_f32_e32 v10, s7, v11
	v_or_b32_e32 v11, 0x400000, v0
	v_cmp_u_f32_e32 vcc_lo, v0, v0
	v_add3_u32 v5, v5, v0, 0x7fff
	v_add_f32_e32 v7, v13, v7
	v_add3_u32 v9, v9, v3, 0x7fff
	v_mul_f32_e32 v8, s7, v8
	v_or_b32_e32 v12, 0x400000, v3
	v_bfe_u32 v13, v10, 16, 1
	v_cndmask_b32_e32 v0, v5, v11, vcc_lo
	v_cmp_u_f32_e32 vcc_lo, v3, v3
	v_bfe_u32 v5, v8, 16, 1
	v_or_b32_e32 v11, 0x400000, v10
	v_mul_f32_e32 v7, s7, v7
	v_mul_f32_e32 v4, s7, v4
	v_cndmask_b32_e32 v3, v9, v12, vcc_lo
	v_add3_u32 v9, v13, v10, 0x7fff
	v_cmp_u_f32_e32 vcc_lo, v10, v10
	v_add3_u32 v5, v5, v8, 0x7fff
	v_or_b32_e32 v12, 0x400000, v8
	v_bfe_u32 v10, v7, 16, 1
	v_mul_f32_e32 v2, s7, v2
	v_cndmask_b32_e32 v9, v9, v11, vcc_lo
	v_cmp_u_f32_e32 vcc_lo, v8, v8
	v_or_b32_e32 v13, 0x400000, v4
	s_mul_i32 s3, s8, s2
	v_or_b32_e32 v14, 0x400000, v2
	s_mul_hi_u32 s4, s8, s6
	v_cndmask_b32_e32 v8, v5, v12, vcc_lo
	v_mul_f32_e32 v5, s7, v6
	v_add3_u32 v6, v10, v7, 0x7fff
	v_or_b32_e32 v10, 0x400000, v7
	v_cmp_u_f32_e32 vcc_lo, v7, v7
	v_bfe_u32 v12, v4, 16, 1
	v_bfe_u32 v11, v5, 16, 1
	v_bfe_u32 v7, v2, 16, 1
	s_mul_i32 s5, s9, s6
	v_cndmask_b32_e32 v6, v6, v10, vcc_lo
	v_cmp_u_f32_e32 vcc_lo, v5, v5
	v_add3_u32 v10, v11, v5, 0x7fff
	v_or_b32_e32 v11, 0x400000, v5
	v_add3_u32 v12, v12, v4, 0x7fff
	v_add3_u32 v7, v7, v2, 0x7fff
	s_add_i32 s3, s4, s3
	s_mul_i32 s2, s8, s6
	v_cndmask_b32_e32 v10, v10, v11, vcc_lo
	v_cmp_u_f32_e32 vcc_lo, v4, v4
	s_add_i32 s3, s3, s5
	v_perm_b32 v5, v0, v3, 0x7060302
	s_lshl_b64 s[2:3], s[2:3], 1
	v_perm_b32 v4, v9, v8, 0x7060302
	v_cndmask_b32_e32 v11, v12, v13, vcc_lo
	v_cmp_u_f32_e32 vcc_lo, v2, v2
	v_perm_b32 v3, v6, v10, 0x7060302
	s_add_u32 s0, s0, s2
	s_addc_u32 s1, s1, s3
	v_cndmask_b32_e32 v2, v7, v14, vcc_lo
	v_perm_b32 v2, v11, v2, 0x7060302
	global_store_dwordx4 v1, v[2:5], s[0:1]
.LBB27_4:
	s_endpgm
	.section	.rodata,"a",@progbits
	.p2align	6, 0x0
	.amdhsa_kernel _Z30fast_hadamard_transform_kernelI37fast_hadamard_transform_kernel_traitsILi2ELi4E14__hip_bfloat16EEv18HadamardParamsBase
		.amdhsa_group_segment_fixed_size 0
		.amdhsa_private_segment_fixed_size 0
		.amdhsa_kernarg_size 56
		.amdhsa_user_sgpr_count 6
		.amdhsa_user_sgpr_private_segment_buffer 1
		.amdhsa_user_sgpr_dispatch_ptr 0
		.amdhsa_user_sgpr_queue_ptr 0
		.amdhsa_user_sgpr_kernarg_segment_ptr 1
		.amdhsa_user_sgpr_dispatch_id 0
		.amdhsa_user_sgpr_flat_scratch_init 0
		.amdhsa_user_sgpr_private_segment_size 0
		.amdhsa_wavefront_size32 1
		.amdhsa_uses_dynamic_stack 0
		.amdhsa_system_sgpr_private_segment_wavefront_offset 0
		.amdhsa_system_sgpr_workgroup_id_x 1
		.amdhsa_system_sgpr_workgroup_id_y 0
		.amdhsa_system_sgpr_workgroup_id_z 0
		.amdhsa_system_sgpr_workgroup_info 0
		.amdhsa_system_vgpr_workitem_id 0
		.amdhsa_next_free_vgpr 18
		.amdhsa_next_free_sgpr 12
		.amdhsa_reserve_vcc 1
		.amdhsa_reserve_flat_scratch 0
		.amdhsa_float_round_mode_32 0
		.amdhsa_float_round_mode_16_64 0
		.amdhsa_float_denorm_mode_32 3
		.amdhsa_float_denorm_mode_16_64 3
		.amdhsa_dx10_clamp 1
		.amdhsa_ieee_mode 1
		.amdhsa_fp16_overflow 0
		.amdhsa_workgroup_processor_mode 1
		.amdhsa_memory_ordered 1
		.amdhsa_forward_progress 1
		.amdhsa_shared_vgpr_count 0
		.amdhsa_exception_fp_ieee_invalid_op 0
		.amdhsa_exception_fp_denorm_src 0
		.amdhsa_exception_fp_ieee_div_zero 0
		.amdhsa_exception_fp_ieee_overflow 0
		.amdhsa_exception_fp_ieee_underflow 0
		.amdhsa_exception_fp_ieee_inexact 0
		.amdhsa_exception_int_div_zero 0
	.end_amdhsa_kernel
	.section	.text._Z30fast_hadamard_transform_kernelI37fast_hadamard_transform_kernel_traitsILi2ELi4E14__hip_bfloat16EEv18HadamardParamsBase,"axG",@progbits,_Z30fast_hadamard_transform_kernelI37fast_hadamard_transform_kernel_traitsILi2ELi4E14__hip_bfloat16EEv18HadamardParamsBase,comdat
.Lfunc_end27:
	.size	_Z30fast_hadamard_transform_kernelI37fast_hadamard_transform_kernel_traitsILi2ELi4E14__hip_bfloat16EEv18HadamardParamsBase, .Lfunc_end27-_Z30fast_hadamard_transform_kernelI37fast_hadamard_transform_kernel_traitsILi2ELi4E14__hip_bfloat16EEv18HadamardParamsBase
                                        ; -- End function
	.set _Z30fast_hadamard_transform_kernelI37fast_hadamard_transform_kernel_traitsILi2ELi4E14__hip_bfloat16EEv18HadamardParamsBase.num_vgpr, 18
	.set _Z30fast_hadamard_transform_kernelI37fast_hadamard_transform_kernel_traitsILi2ELi4E14__hip_bfloat16EEv18HadamardParamsBase.num_agpr, 0
	.set _Z30fast_hadamard_transform_kernelI37fast_hadamard_transform_kernel_traitsILi2ELi4E14__hip_bfloat16EEv18HadamardParamsBase.numbered_sgpr, 12
	.set _Z30fast_hadamard_transform_kernelI37fast_hadamard_transform_kernel_traitsILi2ELi4E14__hip_bfloat16EEv18HadamardParamsBase.num_named_barrier, 0
	.set _Z30fast_hadamard_transform_kernelI37fast_hadamard_transform_kernel_traitsILi2ELi4E14__hip_bfloat16EEv18HadamardParamsBase.private_seg_size, 0
	.set _Z30fast_hadamard_transform_kernelI37fast_hadamard_transform_kernel_traitsILi2ELi4E14__hip_bfloat16EEv18HadamardParamsBase.uses_vcc, 1
	.set _Z30fast_hadamard_transform_kernelI37fast_hadamard_transform_kernel_traitsILi2ELi4E14__hip_bfloat16EEv18HadamardParamsBase.uses_flat_scratch, 0
	.set _Z30fast_hadamard_transform_kernelI37fast_hadamard_transform_kernel_traitsILi2ELi4E14__hip_bfloat16EEv18HadamardParamsBase.has_dyn_sized_stack, 0
	.set _Z30fast_hadamard_transform_kernelI37fast_hadamard_transform_kernel_traitsILi2ELi4E14__hip_bfloat16EEv18HadamardParamsBase.has_recursion, 0
	.set _Z30fast_hadamard_transform_kernelI37fast_hadamard_transform_kernel_traitsILi2ELi4E14__hip_bfloat16EEv18HadamardParamsBase.has_indirect_call, 0
	.section	.AMDGPU.csdata,"",@progbits
; Kernel info:
; codeLenInByte = 940
; TotalNumSgprs: 14
; NumVgprs: 18
; ScratchSize: 0
; MemoryBound: 0
; FloatMode: 240
; IeeeMode: 1
; LDSByteSize: 0 bytes/workgroup (compile time only)
; SGPRBlocks: 0
; VGPRBlocks: 2
; NumSGPRsForWavesPerEU: 14
; NumVGPRsForWavesPerEU: 18
; Occupancy: 16
; WaveLimiterHint : 0
; COMPUTE_PGM_RSRC2:SCRATCH_EN: 0
; COMPUTE_PGM_RSRC2:USER_SGPR: 6
; COMPUTE_PGM_RSRC2:TRAP_HANDLER: 0
; COMPUTE_PGM_RSRC2:TGID_X_EN: 1
; COMPUTE_PGM_RSRC2:TGID_Y_EN: 0
; COMPUTE_PGM_RSRC2:TGID_Z_EN: 0
; COMPUTE_PGM_RSRC2:TIDIG_COMP_CNT: 0
	.section	.text._Z30fast_hadamard_transform_kernelI37fast_hadamard_transform_kernel_traitsILi4ELi5E14__hip_bfloat16EEv18HadamardParamsBase,"axG",@progbits,_Z30fast_hadamard_transform_kernelI37fast_hadamard_transform_kernel_traitsILi4ELi5E14__hip_bfloat16EEv18HadamardParamsBase,comdat
	.protected	_Z30fast_hadamard_transform_kernelI37fast_hadamard_transform_kernel_traitsILi4ELi5E14__hip_bfloat16EEv18HadamardParamsBase ; -- Begin function _Z30fast_hadamard_transform_kernelI37fast_hadamard_transform_kernel_traitsILi4ELi5E14__hip_bfloat16EEv18HadamardParamsBase
	.globl	_Z30fast_hadamard_transform_kernelI37fast_hadamard_transform_kernel_traitsILi4ELi5E14__hip_bfloat16EEv18HadamardParamsBase
	.p2align	8
	.type	_Z30fast_hadamard_transform_kernelI37fast_hadamard_transform_kernel_traitsILi4ELi5E14__hip_bfloat16EEv18HadamardParamsBase,@function
_Z30fast_hadamard_transform_kernelI37fast_hadamard_transform_kernel_traitsILi4ELi5E14__hip_bfloat16EEv18HadamardParamsBase: ; @_Z30fast_hadamard_transform_kernelI37fast_hadamard_transform_kernel_traitsILi4ELi5E14__hip_bfloat16EEv18HadamardParamsBase
; %bb.0:
	s_load_dword s0, s[4:5], 0x4
	v_lshlrev_b32_e32 v9, 3, v0
	v_mov_b32_e32 v2, 0
	v_mov_b32_e32 v3, 0
	;; [unrolled: 1-line block ×7, first 2 shown]
	v_lshlrev_b32_e32 v1, 4, v0
	s_ashr_i32 s2, s6, 31
	s_waitcnt lgkmcnt(0)
	v_cmp_gt_u32_e32 vcc_lo, s0, v9
	v_mov_b32_e32 v9, 0
	s_and_saveexec_b32 s0, vcc_lo
	s_cbranch_execz .LBB28_2
; %bb.1:
	s_clause 0x1
	s_load_dwordx2 s[8:9], s[4:5], 0x10
	s_load_dwordx2 s[10:11], s[4:5], 0x28
	s_waitcnt lgkmcnt(0)
	s_mul_i32 s1, s8, s2
	s_mul_hi_u32 s3, s8, s6
	s_mul_i32 s7, s9, s6
	s_add_i32 s1, s3, s1
	s_mul_i32 s8, s8, s6
	s_add_i32 s9, s1, s7
	s_lshl_b64 s[8:9], s[8:9], 1
	s_add_u32 s8, s10, s8
	s_addc_u32 s9, s11, s9
	global_load_dwordx4 v[10:13], v1, s[8:9]
	s_waitcnt vmcnt(0)
	v_lshlrev_b32_e32 v9, 16, v10
	v_and_b32_e32 v8, 0xffff0000, v10
	v_lshlrev_b32_e32 v7, 16, v11
	v_and_b32_e32 v6, 0xffff0000, v11
	;; [unrolled: 2-line block ×4, first 2 shown]
.LBB28_2:
	s_or_b32 exec_lo, exec_lo, s0
	v_mbcnt_lo_u32_b32 v11, -1, 0
	v_add_f32_e32 v10, v8, v9
	v_sub_f32_e32 v8, v9, v8
	v_add_f32_e32 v9, v6, v7
	v_sub_f32_e32 v6, v7, v6
	v_xor_b32_e32 v12, 1, v11
	v_add_f32_e32 v7, v4, v5
	v_sub_f32_e32 v4, v5, v4
	v_add_f32_e32 v5, v2, v3
	v_sub_f32_e32 v2, v3, v2
	v_cmp_gt_i32_e64 s0, 32, v12
	v_add_f32_e32 v3, v9, v10
	v_sub_f32_e32 v9, v10, v9
	v_add_f32_e32 v10, v6, v8
	v_add_f32_e32 v13, v2, v4
	v_cndmask_b32_e64 v12, v11, v12, s0
	v_sub_f32_e32 v6, v8, v6
	v_add_f32_e32 v8, v5, v7
	v_sub_f32_e32 v5, v7, v5
	v_sub_f32_e32 v2, v4, v2
	v_lshlrev_b32_e32 v7, 2, v12
	v_add_f32_e32 v12, v13, v10
	v_add_f32_e32 v4, v8, v3
	;; [unrolled: 1-line block ×4, first 2 shown]
	v_and_b32_e32 v20, 1, v0
	ds_bpermute_b32 v17, v7, v12
	v_sub_f32_e32 v3, v3, v8
	v_sub_f32_e32 v10, v10, v13
	;; [unrolled: 1-line block ×4, first 2 shown]
	ds_bpermute_b32 v16, v7, v4
	ds_bpermute_b32 v18, v7, v14
	;; [unrolled: 1-line block ×3, first 2 shown]
	v_cmp_eq_u32_e64 s0, 0, v20
	ds_bpermute_b32 v13, v7, v3
	ds_bpermute_b32 v20, v7, v10
	;; [unrolled: 1-line block ×4, first 2 shown]
	v_cndmask_b32_e64 v2, -v4, v4, s0
	v_cndmask_b32_e64 v4, -v12, v12, s0
	v_xor_b32_e32 v12, 2, v11
	v_cndmask_b32_e64 v7, -v14, v14, s0
	v_cndmask_b32_e64 v8, -v15, v15, s0
	;; [unrolled: 1-line block ×4, first 2 shown]
	v_cmp_gt_i32_e64 s1, 32, v12
	s_waitcnt lgkmcnt(7)
	v_add_f32_e32 v6, v4, v17
	v_cndmask_b32_e64 v5, -v5, v5, s0
	v_cndmask_b32_e64 v9, -v9, v9, s0
	v_cndmask_b32_e64 v4, v11, v12, s1
	s_waitcnt lgkmcnt(6)
	v_add_f32_e32 v2, v2, v16
	s_waitcnt lgkmcnt(5)
	v_add_f32_e32 v7, v7, v18
	;; [unrolled: 2-line block ×4, first 2 shown]
	v_lshlrev_b32_e32 v17, 2, v4
	s_waitcnt lgkmcnt(2)
	v_add_f32_e32 v13, v10, v20
	s_waitcnt lgkmcnt(1)
	v_add_f32_e32 v15, v5, v21
	;; [unrolled: 2-line block ×3, first 2 shown]
	ds_bpermute_b32 v3, v17, v2
	ds_bpermute_b32 v4, v17, v6
	;; [unrolled: 1-line block ×8, first 2 shown]
	s_and_saveexec_b32 s0, vcc_lo
	s_cbranch_execz .LBB28_4
; %bb.3:
	v_and_b32_e32 v0, 2, v0
	s_clause 0x2
	s_load_dword s7, s[4:5], 0x20
	s_load_dwordx2 s[0:1], s[4:5], 0x30
	s_load_dwordx2 s[8:9], s[4:5], 0x18
	v_cmp_eq_u32_e32 vcc_lo, 0, v0
	v_cndmask_b32_e64 v0, -v16, v16, vcc_lo
	v_cndmask_b32_e64 v15, -v15, v15, vcc_lo
	;; [unrolled: 1-line block ×5, first 2 shown]
	s_waitcnt lgkmcnt(0)
	v_add_f32_e32 v0, v0, v17
	v_add_f32_e32 v14, v15, v14
	v_cndmask_b32_e64 v7, -v7, v7, vcc_lo
	v_cndmask_b32_e64 v6, -v6, v6, vcc_lo
	v_add_f32_e32 v12, v13, v12
	v_mul_f32_e32 v0, s7, v0
	v_add_f32_e32 v10, v11, v10
	v_add_f32_e32 v8, v8, v9
	v_mul_f32_e32 v9, s7, v14
	v_cndmask_b32_e64 v2, -v2, v2, vcc_lo
	v_bfe_u32 v11, v0, 16, 1
	v_add_f32_e32 v5, v7, v5
	v_add_f32_e32 v4, v6, v4
	v_bfe_u32 v6, v9, 16, 1
	v_add_f32_e32 v2, v2, v3
	v_add3_u32 v3, v11, v0, 0x7fff
	v_mul_f32_e32 v7, s7, v12
	v_or_b32_e32 v11, 0x400000, v0
	v_cmp_u_f32_e32 vcc_lo, v0, v0
	v_add3_u32 v6, v6, v9, 0x7fff
	v_mul_f32_e32 v10, s7, v10
	v_or_b32_e32 v12, 0x400000, v9
	v_bfe_u32 v13, v7, 16, 1
	v_cndmask_b32_e32 v0, v3, v11, vcc_lo
	v_cmp_u_f32_e32 vcc_lo, v9, v9
	v_bfe_u32 v3, v10, 16, 1
	v_or_b32_e32 v11, 0x400000, v7
	v_add3_u32 v9, v13, v7, 0x7fff
	v_mul_f32_e32 v8, s7, v8
	v_cndmask_b32_e32 v6, v6, v12, vcc_lo
	v_cmp_u_f32_e32 vcc_lo, v7, v7
	v_add3_u32 v3, v3, v10, 0x7fff
	v_or_b32_e32 v12, 0x400000, v10
	v_mul_f32_e32 v5, s7, v5
	v_mul_f32_e32 v4, s7, v4
	v_cndmask_b32_e32 v7, v9, v11, vcc_lo
	v_bfe_u32 v9, v8, 16, 1
	v_cmp_u_f32_e32 vcc_lo, v10, v10
	v_or_b32_e32 v10, 0x400000, v8
	v_bfe_u32 v11, v5, 16, 1
	v_mul_f32_e32 v2, s7, v2
	v_add3_u32 v9, v9, v8, 0x7fff
	v_cndmask_b32_e32 v3, v3, v12, vcc_lo
	v_cmp_u_f32_e32 vcc_lo, v8, v8
	v_bfe_u32 v12, v4, 16, 1
	v_or_b32_e32 v13, 0x400000, v4
	v_or_b32_e32 v14, 0x400000, v2
	s_mul_i32 s3, s8, s2
	v_cndmask_b32_e32 v8, v9, v10, vcc_lo
	v_add3_u32 v10, v11, v5, 0x7fff
	v_or_b32_e32 v11, 0x400000, v5
	v_cmp_u_f32_e32 vcc_lo, v5, v5
	v_bfe_u32 v9, v2, 16, 1
	v_add3_u32 v12, v12, v4, 0x7fff
	s_mul_hi_u32 s4, s8, s6
	s_mul_i32 s5, s9, s6
	v_cndmask_b32_e32 v10, v10, v11, vcc_lo
	v_cmp_u_f32_e32 vcc_lo, v4, v4
	v_add3_u32 v9, v9, v2, 0x7fff
	s_add_i32 s3, s4, s3
	s_mul_i32 s2, s8, s6
	s_add_i32 s3, s3, s5
	v_cndmask_b32_e32 v11, v12, v13, vcc_lo
	v_cmp_u_f32_e32 vcc_lo, v2, v2
	s_lshl_b64 s[2:3], s[2:3], 1
	v_perm_b32 v5, v0, v6, 0x7060302
	v_perm_b32 v4, v7, v3, 0x7060302
	;; [unrolled: 1-line block ×3, first 2 shown]
	v_cndmask_b32_e32 v2, v9, v14, vcc_lo
	s_add_u32 s0, s0, s2
	s_addc_u32 s1, s1, s3
	v_perm_b32 v2, v11, v2, 0x7060302
	global_store_dwordx4 v1, v[2:5], s[0:1]
.LBB28_4:
	s_endpgm
	.section	.rodata,"a",@progbits
	.p2align	6, 0x0
	.amdhsa_kernel _Z30fast_hadamard_transform_kernelI37fast_hadamard_transform_kernel_traitsILi4ELi5E14__hip_bfloat16EEv18HadamardParamsBase
		.amdhsa_group_segment_fixed_size 0
		.amdhsa_private_segment_fixed_size 0
		.amdhsa_kernarg_size 56
		.amdhsa_user_sgpr_count 6
		.amdhsa_user_sgpr_private_segment_buffer 1
		.amdhsa_user_sgpr_dispatch_ptr 0
		.amdhsa_user_sgpr_queue_ptr 0
		.amdhsa_user_sgpr_kernarg_segment_ptr 1
		.amdhsa_user_sgpr_dispatch_id 0
		.amdhsa_user_sgpr_flat_scratch_init 0
		.amdhsa_user_sgpr_private_segment_size 0
		.amdhsa_wavefront_size32 1
		.amdhsa_uses_dynamic_stack 0
		.amdhsa_system_sgpr_private_segment_wavefront_offset 0
		.amdhsa_system_sgpr_workgroup_id_x 1
		.amdhsa_system_sgpr_workgroup_id_y 0
		.amdhsa_system_sgpr_workgroup_id_z 0
		.amdhsa_system_sgpr_workgroup_info 0
		.amdhsa_system_vgpr_workitem_id 0
		.amdhsa_next_free_vgpr 23
		.amdhsa_next_free_sgpr 12
		.amdhsa_reserve_vcc 1
		.amdhsa_reserve_flat_scratch 0
		.amdhsa_float_round_mode_32 0
		.amdhsa_float_round_mode_16_64 0
		.amdhsa_float_denorm_mode_32 3
		.amdhsa_float_denorm_mode_16_64 3
		.amdhsa_dx10_clamp 1
		.amdhsa_ieee_mode 1
		.amdhsa_fp16_overflow 0
		.amdhsa_workgroup_processor_mode 1
		.amdhsa_memory_ordered 1
		.amdhsa_forward_progress 1
		.amdhsa_shared_vgpr_count 0
		.amdhsa_exception_fp_ieee_invalid_op 0
		.amdhsa_exception_fp_denorm_src 0
		.amdhsa_exception_fp_ieee_div_zero 0
		.amdhsa_exception_fp_ieee_overflow 0
		.amdhsa_exception_fp_ieee_underflow 0
		.amdhsa_exception_fp_ieee_inexact 0
		.amdhsa_exception_int_div_zero 0
	.end_amdhsa_kernel
	.section	.text._Z30fast_hadamard_transform_kernelI37fast_hadamard_transform_kernel_traitsILi4ELi5E14__hip_bfloat16EEv18HadamardParamsBase,"axG",@progbits,_Z30fast_hadamard_transform_kernelI37fast_hadamard_transform_kernel_traitsILi4ELi5E14__hip_bfloat16EEv18HadamardParamsBase,comdat
.Lfunc_end28:
	.size	_Z30fast_hadamard_transform_kernelI37fast_hadamard_transform_kernel_traitsILi4ELi5E14__hip_bfloat16EEv18HadamardParamsBase, .Lfunc_end28-_Z30fast_hadamard_transform_kernelI37fast_hadamard_transform_kernel_traitsILi4ELi5E14__hip_bfloat16EEv18HadamardParamsBase
                                        ; -- End function
	.set _Z30fast_hadamard_transform_kernelI37fast_hadamard_transform_kernel_traitsILi4ELi5E14__hip_bfloat16EEv18HadamardParamsBase.num_vgpr, 23
	.set _Z30fast_hadamard_transform_kernelI37fast_hadamard_transform_kernel_traitsILi4ELi5E14__hip_bfloat16EEv18HadamardParamsBase.num_agpr, 0
	.set _Z30fast_hadamard_transform_kernelI37fast_hadamard_transform_kernel_traitsILi4ELi5E14__hip_bfloat16EEv18HadamardParamsBase.numbered_sgpr, 12
	.set _Z30fast_hadamard_transform_kernelI37fast_hadamard_transform_kernel_traitsILi4ELi5E14__hip_bfloat16EEv18HadamardParamsBase.num_named_barrier, 0
	.set _Z30fast_hadamard_transform_kernelI37fast_hadamard_transform_kernel_traitsILi4ELi5E14__hip_bfloat16EEv18HadamardParamsBase.private_seg_size, 0
	.set _Z30fast_hadamard_transform_kernelI37fast_hadamard_transform_kernel_traitsILi4ELi5E14__hip_bfloat16EEv18HadamardParamsBase.uses_vcc, 1
	.set _Z30fast_hadamard_transform_kernelI37fast_hadamard_transform_kernel_traitsILi4ELi5E14__hip_bfloat16EEv18HadamardParamsBase.uses_flat_scratch, 0
	.set _Z30fast_hadamard_transform_kernelI37fast_hadamard_transform_kernel_traitsILi4ELi5E14__hip_bfloat16EEv18HadamardParamsBase.has_dyn_sized_stack, 0
	.set _Z30fast_hadamard_transform_kernelI37fast_hadamard_transform_kernel_traitsILi4ELi5E14__hip_bfloat16EEv18HadamardParamsBase.has_recursion, 0
	.set _Z30fast_hadamard_transform_kernelI37fast_hadamard_transform_kernel_traitsILi4ELi5E14__hip_bfloat16EEv18HadamardParamsBase.has_indirect_call, 0
	.section	.AMDGPU.csdata,"",@progbits
; Kernel info:
; codeLenInByte = 1172
; TotalNumSgprs: 14
; NumVgprs: 23
; ScratchSize: 0
; MemoryBound: 0
; FloatMode: 240
; IeeeMode: 1
; LDSByteSize: 0 bytes/workgroup (compile time only)
; SGPRBlocks: 0
; VGPRBlocks: 2
; NumSGPRsForWavesPerEU: 14
; NumVGPRsForWavesPerEU: 23
; Occupancy: 16
; WaveLimiterHint : 0
; COMPUTE_PGM_RSRC2:SCRATCH_EN: 0
; COMPUTE_PGM_RSRC2:USER_SGPR: 6
; COMPUTE_PGM_RSRC2:TRAP_HANDLER: 0
; COMPUTE_PGM_RSRC2:TGID_X_EN: 1
; COMPUTE_PGM_RSRC2:TGID_Y_EN: 0
; COMPUTE_PGM_RSRC2:TGID_Z_EN: 0
; COMPUTE_PGM_RSRC2:TIDIG_COMP_CNT: 0
	.section	.text._Z30fast_hadamard_transform_kernelI37fast_hadamard_transform_kernel_traitsILi8ELi6E14__hip_bfloat16EEv18HadamardParamsBase,"axG",@progbits,_Z30fast_hadamard_transform_kernelI37fast_hadamard_transform_kernel_traitsILi8ELi6E14__hip_bfloat16EEv18HadamardParamsBase,comdat
	.protected	_Z30fast_hadamard_transform_kernelI37fast_hadamard_transform_kernel_traitsILi8ELi6E14__hip_bfloat16EEv18HadamardParamsBase ; -- Begin function _Z30fast_hadamard_transform_kernelI37fast_hadamard_transform_kernel_traitsILi8ELi6E14__hip_bfloat16EEv18HadamardParamsBase
	.globl	_Z30fast_hadamard_transform_kernelI37fast_hadamard_transform_kernel_traitsILi8ELi6E14__hip_bfloat16EEv18HadamardParamsBase
	.p2align	8
	.type	_Z30fast_hadamard_transform_kernelI37fast_hadamard_transform_kernel_traitsILi8ELi6E14__hip_bfloat16EEv18HadamardParamsBase,@function
_Z30fast_hadamard_transform_kernelI37fast_hadamard_transform_kernel_traitsILi8ELi6E14__hip_bfloat16EEv18HadamardParamsBase: ; @_Z30fast_hadamard_transform_kernelI37fast_hadamard_transform_kernel_traitsILi8ELi6E14__hip_bfloat16EEv18HadamardParamsBase
; %bb.0:
	s_load_dword s0, s[4:5], 0x4
	v_lshlrev_b32_e32 v9, 3, v0
	v_mov_b32_e32 v2, 0
	v_mov_b32_e32 v3, 0
	;; [unrolled: 1-line block ×7, first 2 shown]
	v_lshlrev_b32_e32 v1, 4, v0
	s_ashr_i32 s2, s6, 31
	s_waitcnt lgkmcnt(0)
	v_cmp_gt_u32_e32 vcc_lo, s0, v9
	v_mov_b32_e32 v9, 0
	s_and_saveexec_b32 s0, vcc_lo
	s_cbranch_execz .LBB29_2
; %bb.1:
	s_clause 0x1
	s_load_dwordx2 s[8:9], s[4:5], 0x10
	s_load_dwordx2 s[10:11], s[4:5], 0x28
	s_waitcnt lgkmcnt(0)
	s_mul_i32 s1, s8, s2
	s_mul_hi_u32 s3, s8, s6
	s_mul_i32 s7, s9, s6
	s_add_i32 s1, s3, s1
	s_mul_i32 s8, s8, s6
	s_add_i32 s9, s1, s7
	s_lshl_b64 s[8:9], s[8:9], 1
	s_add_u32 s8, s10, s8
	s_addc_u32 s9, s11, s9
	global_load_dwordx4 v[10:13], v1, s[8:9]
	s_waitcnt vmcnt(0)
	v_lshlrev_b32_e32 v9, 16, v10
	v_and_b32_e32 v8, 0xffff0000, v10
	v_lshlrev_b32_e32 v7, 16, v11
	v_and_b32_e32 v6, 0xffff0000, v11
	;; [unrolled: 2-line block ×4, first 2 shown]
.LBB29_2:
	s_or_b32 exec_lo, exec_lo, s0
	v_mbcnt_lo_u32_b32 v11, -1, 0
	v_add_f32_e32 v10, v8, v9
	v_sub_f32_e32 v8, v9, v8
	v_add_f32_e32 v9, v6, v7
	v_sub_f32_e32 v6, v7, v6
	v_xor_b32_e32 v12, 1, v11
	v_add_f32_e32 v7, v4, v5
	v_sub_f32_e32 v4, v5, v4
	v_add_f32_e32 v5, v2, v3
	v_sub_f32_e32 v2, v3, v2
	v_cmp_gt_i32_e64 s0, 32, v12
	v_add_f32_e32 v3, v9, v10
	v_sub_f32_e32 v9, v10, v9
	v_add_f32_e32 v10, v6, v8
	v_add_f32_e32 v13, v2, v4
	v_cndmask_b32_e64 v12, v11, v12, s0
	v_sub_f32_e32 v6, v8, v6
	v_add_f32_e32 v8, v5, v7
	v_sub_f32_e32 v5, v7, v5
	v_sub_f32_e32 v2, v4, v2
	v_lshlrev_b32_e32 v7, 2, v12
	v_add_f32_e32 v12, v13, v10
	v_and_b32_e32 v16, 1, v0
	v_add_f32_e32 v4, v8, v3
	v_add_f32_e32 v14, v5, v9
	;; [unrolled: 1-line block ×3, first 2 shown]
	ds_bpermute_b32 v18, v7, v12
	v_sub_f32_e32 v3, v3, v8
	v_cmp_eq_u32_e64 s0, 0, v16
	v_sub_f32_e32 v10, v10, v13
	v_sub_f32_e32 v5, v9, v5
	;; [unrolled: 1-line block ×3, first 2 shown]
	ds_bpermute_b32 v17, v7, v4
	ds_bpermute_b32 v19, v7, v14
	;; [unrolled: 1-line block ×3, first 2 shown]
	v_cndmask_b32_e64 v6, -v12, v12, s0
	v_cndmask_b32_e64 v9, -v14, v14, s0
	v_xor_b32_e32 v12, 2, v11
	ds_bpermute_b32 v13, v7, v3
	ds_bpermute_b32 v14, v7, v10
	;; [unrolled: 1-line block ×4, first 2 shown]
	v_cmp_gt_i32_e64 s1, 32, v12
	v_cndmask_b32_e64 v4, -v4, v4, s0
	v_cndmask_b32_e64 v15, -v15, v15, s0
	;; [unrolled: 1-line block ×3, first 2 shown]
	s_waitcnt lgkmcnt(7)
	v_add_f32_e32 v6, v6, v18
	v_cndmask_b32_e64 v12, v11, v12, s1
	v_cndmask_b32_e64 v10, -v10, v10, s0
	v_cndmask_b32_e64 v5, -v5, v5, s0
	;; [unrolled: 1-line block ×3, first 2 shown]
	v_and_b32_e32 v20, 2, v0
	v_lshlrev_b32_e32 v12, 2, v12
	s_waitcnt lgkmcnt(6)
	v_add_f32_e32 v4, v4, v17
	s_waitcnt lgkmcnt(5)
	v_add_f32_e32 v9, v9, v19
	;; [unrolled: 2-line block ×3, first 2 shown]
	v_cmp_eq_u32_e64 s0, 0, v20
	ds_bpermute_b32 v17, v12, v6
	s_waitcnt lgkmcnt(4)
	v_add_f32_e32 v3, v3, v13
	s_waitcnt lgkmcnt(3)
	v_add_f32_e32 v10, v10, v14
	;; [unrolled: 2-line block ×4, first 2 shown]
	ds_bpermute_b32 v15, v12, v4
	ds_bpermute_b32 v18, v12, v9
	;; [unrolled: 1-line block ×7, first 2 shown]
	v_cndmask_b32_e64 v7, -v9, v9, s0
	v_xor_b32_e32 v9, 4, v11
	v_cndmask_b32_e64 v2, -v4, v4, s0
	v_cndmask_b32_e64 v4, -v6, v6, s0
	;; [unrolled: 1-line block ×4, first 2 shown]
	v_cmp_gt_i32_e64 s1, 32, v9
	v_cndmask_b32_e64 v5, -v5, v5, s0
	s_waitcnt lgkmcnt(7)
	v_add_f32_e32 v6, v4, v17
	v_cndmask_b32_e64 v4, v11, v9, s1
	v_cndmask_b32_e64 v9, -v10, v10, s0
	v_cndmask_b32_e64 v10, -v13, v13, s0
	s_waitcnt lgkmcnt(6)
	v_add_f32_e32 v2, v2, v15
	s_waitcnt lgkmcnt(5)
	v_add_f32_e32 v7, v7, v18
	;; [unrolled: 2-line block ×3, first 2 shown]
	v_lshlrev_b32_e32 v17, 2, v4
	s_waitcnt lgkmcnt(3)
	v_add_f32_e32 v11, v3, v14
	s_waitcnt lgkmcnt(2)
	v_add_f32_e32 v13, v9, v16
	;; [unrolled: 2-line block ×4, first 2 shown]
	ds_bpermute_b32 v3, v17, v2
	ds_bpermute_b32 v4, v17, v6
	;; [unrolled: 1-line block ×8, first 2 shown]
	s_and_saveexec_b32 s0, vcc_lo
	s_cbranch_execz .LBB29_4
; %bb.3:
	v_and_b32_e32 v0, 4, v0
	s_clause 0x2
	s_load_dword s7, s[4:5], 0x20
	s_load_dwordx2 s[0:1], s[4:5], 0x30
	s_load_dwordx2 s[8:9], s[4:5], 0x18
	v_cmp_eq_u32_e32 vcc_lo, 0, v0
	v_cndmask_b32_e64 v0, -v16, v16, vcc_lo
	v_cndmask_b32_e64 v15, -v15, v15, vcc_lo
	;; [unrolled: 1-line block ×5, first 2 shown]
	s_waitcnt lgkmcnt(0)
	v_add_f32_e32 v0, v0, v17
	v_add_f32_e32 v14, v15, v14
	v_cndmask_b32_e64 v7, -v7, v7, vcc_lo
	v_cndmask_b32_e64 v6, -v6, v6, vcc_lo
	v_add_f32_e32 v12, v13, v12
	v_mul_f32_e32 v0, s7, v0
	v_add_f32_e32 v10, v11, v10
	v_add_f32_e32 v8, v8, v9
	v_mul_f32_e32 v9, s7, v14
	v_cndmask_b32_e64 v2, -v2, v2, vcc_lo
	v_bfe_u32 v11, v0, 16, 1
	v_add_f32_e32 v5, v7, v5
	v_add_f32_e32 v4, v6, v4
	v_bfe_u32 v6, v9, 16, 1
	v_add_f32_e32 v2, v2, v3
	v_add3_u32 v3, v11, v0, 0x7fff
	v_mul_f32_e32 v7, s7, v12
	v_or_b32_e32 v11, 0x400000, v0
	v_cmp_u_f32_e32 vcc_lo, v0, v0
	v_add3_u32 v6, v6, v9, 0x7fff
	v_mul_f32_e32 v10, s7, v10
	v_or_b32_e32 v12, 0x400000, v9
	v_bfe_u32 v13, v7, 16, 1
	v_cndmask_b32_e32 v0, v3, v11, vcc_lo
	v_cmp_u_f32_e32 vcc_lo, v9, v9
	v_bfe_u32 v3, v10, 16, 1
	v_or_b32_e32 v11, 0x400000, v7
	v_add3_u32 v9, v13, v7, 0x7fff
	v_mul_f32_e32 v8, s7, v8
	v_cndmask_b32_e32 v6, v6, v12, vcc_lo
	v_cmp_u_f32_e32 vcc_lo, v7, v7
	v_add3_u32 v3, v3, v10, 0x7fff
	v_or_b32_e32 v12, 0x400000, v10
	v_mul_f32_e32 v5, s7, v5
	v_mul_f32_e32 v4, s7, v4
	v_cndmask_b32_e32 v7, v9, v11, vcc_lo
	v_bfe_u32 v9, v8, 16, 1
	v_cmp_u_f32_e32 vcc_lo, v10, v10
	v_or_b32_e32 v10, 0x400000, v8
	v_bfe_u32 v11, v5, 16, 1
	v_mul_f32_e32 v2, s7, v2
	v_add3_u32 v9, v9, v8, 0x7fff
	v_cndmask_b32_e32 v3, v3, v12, vcc_lo
	v_cmp_u_f32_e32 vcc_lo, v8, v8
	v_bfe_u32 v12, v4, 16, 1
	v_or_b32_e32 v13, 0x400000, v4
	v_or_b32_e32 v14, 0x400000, v2
	s_mul_i32 s3, s8, s2
	v_cndmask_b32_e32 v8, v9, v10, vcc_lo
	v_add3_u32 v10, v11, v5, 0x7fff
	v_or_b32_e32 v11, 0x400000, v5
	v_cmp_u_f32_e32 vcc_lo, v5, v5
	v_bfe_u32 v9, v2, 16, 1
	v_add3_u32 v12, v12, v4, 0x7fff
	s_mul_hi_u32 s4, s8, s6
	s_mul_i32 s5, s9, s6
	v_cndmask_b32_e32 v10, v10, v11, vcc_lo
	v_cmp_u_f32_e32 vcc_lo, v4, v4
	v_add3_u32 v9, v9, v2, 0x7fff
	s_add_i32 s3, s4, s3
	s_mul_i32 s2, s8, s6
	s_add_i32 s3, s3, s5
	v_cndmask_b32_e32 v11, v12, v13, vcc_lo
	v_cmp_u_f32_e32 vcc_lo, v2, v2
	s_lshl_b64 s[2:3], s[2:3], 1
	v_perm_b32 v5, v0, v6, 0x7060302
	v_perm_b32 v4, v7, v3, 0x7060302
	;; [unrolled: 1-line block ×3, first 2 shown]
	v_cndmask_b32_e32 v2, v9, v14, vcc_lo
	s_add_u32 s0, s0, s2
	s_addc_u32 s1, s1, s3
	v_perm_b32 v2, v11, v2, 0x7060302
	global_store_dwordx4 v1, v[2:5], s[0:1]
.LBB29_4:
	s_endpgm
	.section	.rodata,"a",@progbits
	.p2align	6, 0x0
	.amdhsa_kernel _Z30fast_hadamard_transform_kernelI37fast_hadamard_transform_kernel_traitsILi8ELi6E14__hip_bfloat16EEv18HadamardParamsBase
		.amdhsa_group_segment_fixed_size 0
		.amdhsa_private_segment_fixed_size 0
		.amdhsa_kernarg_size 56
		.amdhsa_user_sgpr_count 6
		.amdhsa_user_sgpr_private_segment_buffer 1
		.amdhsa_user_sgpr_dispatch_ptr 0
		.amdhsa_user_sgpr_queue_ptr 0
		.amdhsa_user_sgpr_kernarg_segment_ptr 1
		.amdhsa_user_sgpr_dispatch_id 0
		.amdhsa_user_sgpr_flat_scratch_init 0
		.amdhsa_user_sgpr_private_segment_size 0
		.amdhsa_wavefront_size32 1
		.amdhsa_uses_dynamic_stack 0
		.amdhsa_system_sgpr_private_segment_wavefront_offset 0
		.amdhsa_system_sgpr_workgroup_id_x 1
		.amdhsa_system_sgpr_workgroup_id_y 0
		.amdhsa_system_sgpr_workgroup_id_z 0
		.amdhsa_system_sgpr_workgroup_info 0
		.amdhsa_system_vgpr_workitem_id 0
		.amdhsa_next_free_vgpr 21
		.amdhsa_next_free_sgpr 12
		.amdhsa_reserve_vcc 1
		.amdhsa_reserve_flat_scratch 0
		.amdhsa_float_round_mode_32 0
		.amdhsa_float_round_mode_16_64 0
		.amdhsa_float_denorm_mode_32 3
		.amdhsa_float_denorm_mode_16_64 3
		.amdhsa_dx10_clamp 1
		.amdhsa_ieee_mode 1
		.amdhsa_fp16_overflow 0
		.amdhsa_workgroup_processor_mode 1
		.amdhsa_memory_ordered 1
		.amdhsa_forward_progress 1
		.amdhsa_shared_vgpr_count 0
		.amdhsa_exception_fp_ieee_invalid_op 0
		.amdhsa_exception_fp_denorm_src 0
		.amdhsa_exception_fp_ieee_div_zero 0
		.amdhsa_exception_fp_ieee_overflow 0
		.amdhsa_exception_fp_ieee_underflow 0
		.amdhsa_exception_fp_ieee_inexact 0
		.amdhsa_exception_int_div_zero 0
	.end_amdhsa_kernel
	.section	.text._Z30fast_hadamard_transform_kernelI37fast_hadamard_transform_kernel_traitsILi8ELi6E14__hip_bfloat16EEv18HadamardParamsBase,"axG",@progbits,_Z30fast_hadamard_transform_kernelI37fast_hadamard_transform_kernel_traitsILi8ELi6E14__hip_bfloat16EEv18HadamardParamsBase,comdat
.Lfunc_end29:
	.size	_Z30fast_hadamard_transform_kernelI37fast_hadamard_transform_kernel_traitsILi8ELi6E14__hip_bfloat16EEv18HadamardParamsBase, .Lfunc_end29-_Z30fast_hadamard_transform_kernelI37fast_hadamard_transform_kernel_traitsILi8ELi6E14__hip_bfloat16EEv18HadamardParamsBase
                                        ; -- End function
	.set _Z30fast_hadamard_transform_kernelI37fast_hadamard_transform_kernel_traitsILi8ELi6E14__hip_bfloat16EEv18HadamardParamsBase.num_vgpr, 21
	.set _Z30fast_hadamard_transform_kernelI37fast_hadamard_transform_kernel_traitsILi8ELi6E14__hip_bfloat16EEv18HadamardParamsBase.num_agpr, 0
	.set _Z30fast_hadamard_transform_kernelI37fast_hadamard_transform_kernel_traitsILi8ELi6E14__hip_bfloat16EEv18HadamardParamsBase.numbered_sgpr, 12
	.set _Z30fast_hadamard_transform_kernelI37fast_hadamard_transform_kernel_traitsILi8ELi6E14__hip_bfloat16EEv18HadamardParamsBase.num_named_barrier, 0
	.set _Z30fast_hadamard_transform_kernelI37fast_hadamard_transform_kernel_traitsILi8ELi6E14__hip_bfloat16EEv18HadamardParamsBase.private_seg_size, 0
	.set _Z30fast_hadamard_transform_kernelI37fast_hadamard_transform_kernel_traitsILi8ELi6E14__hip_bfloat16EEv18HadamardParamsBase.uses_vcc, 1
	.set _Z30fast_hadamard_transform_kernelI37fast_hadamard_transform_kernel_traitsILi8ELi6E14__hip_bfloat16EEv18HadamardParamsBase.uses_flat_scratch, 0
	.set _Z30fast_hadamard_transform_kernelI37fast_hadamard_transform_kernel_traitsILi8ELi6E14__hip_bfloat16EEv18HadamardParamsBase.has_dyn_sized_stack, 0
	.set _Z30fast_hadamard_transform_kernelI37fast_hadamard_transform_kernel_traitsILi8ELi6E14__hip_bfloat16EEv18HadamardParamsBase.has_recursion, 0
	.set _Z30fast_hadamard_transform_kernelI37fast_hadamard_transform_kernel_traitsILi8ELi6E14__hip_bfloat16EEv18HadamardParamsBase.has_indirect_call, 0
	.section	.AMDGPU.csdata,"",@progbits
; Kernel info:
; codeLenInByte = 1400
; TotalNumSgprs: 14
; NumVgprs: 21
; ScratchSize: 0
; MemoryBound: 0
; FloatMode: 240
; IeeeMode: 1
; LDSByteSize: 0 bytes/workgroup (compile time only)
; SGPRBlocks: 0
; VGPRBlocks: 2
; NumSGPRsForWavesPerEU: 14
; NumVGPRsForWavesPerEU: 21
; Occupancy: 16
; WaveLimiterHint : 0
; COMPUTE_PGM_RSRC2:SCRATCH_EN: 0
; COMPUTE_PGM_RSRC2:USER_SGPR: 6
; COMPUTE_PGM_RSRC2:TRAP_HANDLER: 0
; COMPUTE_PGM_RSRC2:TGID_X_EN: 1
; COMPUTE_PGM_RSRC2:TGID_Y_EN: 0
; COMPUTE_PGM_RSRC2:TGID_Z_EN: 0
; COMPUTE_PGM_RSRC2:TIDIG_COMP_CNT: 0
	.section	.text._Z30fast_hadamard_transform_kernelI37fast_hadamard_transform_kernel_traitsILi16ELi7E14__hip_bfloat16EEv18HadamardParamsBase,"axG",@progbits,_Z30fast_hadamard_transform_kernelI37fast_hadamard_transform_kernel_traitsILi16ELi7E14__hip_bfloat16EEv18HadamardParamsBase,comdat
	.protected	_Z30fast_hadamard_transform_kernelI37fast_hadamard_transform_kernel_traitsILi16ELi7E14__hip_bfloat16EEv18HadamardParamsBase ; -- Begin function _Z30fast_hadamard_transform_kernelI37fast_hadamard_transform_kernel_traitsILi16ELi7E14__hip_bfloat16EEv18HadamardParamsBase
	.globl	_Z30fast_hadamard_transform_kernelI37fast_hadamard_transform_kernel_traitsILi16ELi7E14__hip_bfloat16EEv18HadamardParamsBase
	.p2align	8
	.type	_Z30fast_hadamard_transform_kernelI37fast_hadamard_transform_kernel_traitsILi16ELi7E14__hip_bfloat16EEv18HadamardParamsBase,@function
_Z30fast_hadamard_transform_kernelI37fast_hadamard_transform_kernel_traitsILi16ELi7E14__hip_bfloat16EEv18HadamardParamsBase: ; @_Z30fast_hadamard_transform_kernelI37fast_hadamard_transform_kernel_traitsILi16ELi7E14__hip_bfloat16EEv18HadamardParamsBase
; %bb.0:
	s_load_dword s0, s[4:5], 0x4
	v_lshlrev_b32_e32 v9, 3, v0
	v_mov_b32_e32 v2, 0
	v_mov_b32_e32 v3, 0
	;; [unrolled: 1-line block ×7, first 2 shown]
	v_lshlrev_b32_e32 v1, 4, v0
	s_ashr_i32 s2, s6, 31
	s_waitcnt lgkmcnt(0)
	v_cmp_gt_u32_e32 vcc_lo, s0, v9
	v_mov_b32_e32 v9, 0
	s_and_saveexec_b32 s0, vcc_lo
	s_cbranch_execz .LBB30_2
; %bb.1:
	s_clause 0x1
	s_load_dwordx2 s[8:9], s[4:5], 0x10
	s_load_dwordx2 s[10:11], s[4:5], 0x28
	s_waitcnt lgkmcnt(0)
	s_mul_i32 s1, s8, s2
	s_mul_hi_u32 s3, s8, s6
	s_mul_i32 s7, s9, s6
	s_add_i32 s1, s3, s1
	s_mul_i32 s8, s8, s6
	s_add_i32 s9, s1, s7
	s_lshl_b64 s[8:9], s[8:9], 1
	s_add_u32 s8, s10, s8
	s_addc_u32 s9, s11, s9
	global_load_dwordx4 v[10:13], v1, s[8:9]
	s_waitcnt vmcnt(0)
	v_lshlrev_b32_e32 v9, 16, v10
	v_and_b32_e32 v8, 0xffff0000, v10
	v_lshlrev_b32_e32 v7, 16, v11
	v_and_b32_e32 v6, 0xffff0000, v11
	;; [unrolled: 2-line block ×4, first 2 shown]
.LBB30_2:
	s_or_b32 exec_lo, exec_lo, s0
	v_mbcnt_lo_u32_b32 v11, -1, 0
	v_add_f32_e32 v10, v8, v9
	v_sub_f32_e32 v8, v9, v8
	v_add_f32_e32 v9, v6, v7
	v_add_f32_e32 v12, v4, v5
	v_xor_b32_e32 v14, 1, v11
	v_add_f32_e32 v13, v2, v3
	v_sub_f32_e32 v6, v7, v6
	v_sub_f32_e32 v4, v5, v4
	v_add_f32_e32 v5, v9, v10
	v_cmp_gt_i32_e64 s0, 32, v14
	v_add_f32_e32 v7, v13, v12
	v_sub_f32_e32 v2, v3, v2
	v_sub_f32_e32 v3, v10, v9
	v_add_f32_e32 v9, v6, v8
	v_cndmask_b32_e64 v14, v11, v14, s0
	v_add_f32_e32 v10, v7, v5
	v_sub_f32_e32 v6, v8, v6
	v_sub_f32_e32 v8, v12, v13
	v_add_f32_e32 v12, v2, v4
	v_lshlrev_b32_e32 v14, 2, v14
	v_sub_f32_e32 v2, v4, v2
	v_and_b32_e32 v17, 1, v0
	v_add_f32_e32 v15, v8, v3
	v_add_f32_e32 v13, v12, v9
	ds_bpermute_b32 v4, v14, v10
	v_add_f32_e32 v16, v2, v6
	v_sub_f32_e32 v5, v5, v7
	ds_bpermute_b32 v18, v14, v15
	ds_bpermute_b32 v7, v14, v13
	v_cmp_eq_u32_e64 s0, 0, v17
	ds_bpermute_b32 v19, v14, v16
	v_sub_f32_e32 v9, v9, v12
	v_sub_f32_e32 v3, v3, v8
	v_sub_f32_e32 v2, v6, v2
	v_xor_b32_e32 v20, 2, v11
	ds_bpermute_b32 v21, v14, v5
	v_cndmask_b32_e64 v6, -v13, v13, s0
	ds_bpermute_b32 v12, v14, v9
	ds_bpermute_b32 v13, v14, v3
	;; [unrolled: 1-line block ×3, first 2 shown]
	v_cndmask_b32_e64 v10, -v10, v10, s0
	v_cmp_gt_i32_e64 s1, 32, v20
	v_cndmask_b32_e64 v8, -v15, v15, s0
	v_cndmask_b32_e64 v5, -v5, v5, s0
	;; [unrolled: 1-line block ×3, first 2 shown]
	s_waitcnt lgkmcnt(7)
	v_add_f32_e32 v4, v10, v4
	v_cndmask_b32_e64 v10, -v16, v16, s0
	v_cndmask_b32_e64 v15, v11, v20, s1
	s_waitcnt lgkmcnt(5)
	v_add_f32_e32 v6, v6, v7
	v_add_f32_e32 v7, v8, v18
	v_cndmask_b32_e64 v3, -v3, v3, s0
	s_waitcnt lgkmcnt(4)
	v_add_f32_e32 v8, v10, v19
	v_lshlrev_b32_e32 v10, 2, v15
	v_cndmask_b32_e64 v2, -v2, v2, s0
	v_and_b32_e32 v15, 2, v0
	s_waitcnt lgkmcnt(3)
	v_add_f32_e32 v5, v5, v21
	v_and_b32_e32 v20, 4, v0
	ds_bpermute_b32 v17, v10, v6
	s_waitcnt lgkmcnt(3)
	v_add_f32_e32 v9, v9, v12
	s_waitcnt lgkmcnt(2)
	v_add_f32_e32 v3, v3, v13
	;; [unrolled: 2-line block ×3, first 2 shown]
	ds_bpermute_b32 v16, v10, v4
	ds_bpermute_b32 v18, v10, v7
	;; [unrolled: 1-line block ×3, first 2 shown]
	v_cmp_eq_u32_e64 s0, 0, v15
	v_xor_b32_e32 v12, 4, v11
	ds_bpermute_b32 v13, v10, v5
	ds_bpermute_b32 v14, v10, v9
	ds_bpermute_b32 v15, v10, v3
	ds_bpermute_b32 v10, v10, v2
	v_cmp_gt_i32_e64 s1, 32, v12
	v_cndmask_b32_e64 v6, -v6, v6, s0
	v_cndmask_b32_e64 v4, -v4, v4, s0
	;; [unrolled: 1-line block ×4, first 2 shown]
	v_cndmask_b32_e64 v12, v11, v12, s1
	v_cndmask_b32_e64 v5, -v5, v5, s0
	s_waitcnt lgkmcnt(7)
	v_add_f32_e32 v6, v6, v17
	v_cndmask_b32_e64 v9, -v9, v9, s0
	v_cndmask_b32_e64 v3, -v3, v3, s0
	v_lshlrev_b32_e32 v12, 2, v12
	v_cndmask_b32_e64 v2, -v2, v2, s0
	s_waitcnt lgkmcnt(6)
	v_add_f32_e32 v4, v4, v16
	s_waitcnt lgkmcnt(5)
	v_add_f32_e32 v7, v7, v18
	;; [unrolled: 2-line block ×3, first 2 shown]
	ds_bpermute_b32 v17, v12, v6
	s_waitcnt lgkmcnt(4)
	v_add_f32_e32 v5, v5, v13
	s_waitcnt lgkmcnt(3)
	v_add_f32_e32 v9, v9, v14
	;; [unrolled: 2-line block ×4, first 2 shown]
	ds_bpermute_b32 v16, v12, v4
	ds_bpermute_b32 v18, v12, v7
	;; [unrolled: 1-line block ×7, first 2 shown]
	v_cmp_eq_u32_e64 s0, 0, v20
	v_xor_b32_e32 v20, 8, v11
	v_cndmask_b32_e64 v2, -v4, v4, s0
	v_cndmask_b32_e64 v4, -v6, v6, s0
	v_cmp_gt_i32_e64 s1, 32, v20
	v_cndmask_b32_e64 v7, -v7, v7, s0
	v_cndmask_b32_e64 v8, -v8, v8, s0
	;; [unrolled: 1-line block ×3, first 2 shown]
	s_waitcnt lgkmcnt(7)
	v_add_f32_e32 v6, v4, v17
	v_cndmask_b32_e64 v4, v11, v20, s1
	v_cndmask_b32_e64 v9, -v9, v9, s0
	v_cndmask_b32_e64 v3, -v3, v3, s0
	;; [unrolled: 1-line block ×3, first 2 shown]
	s_waitcnt lgkmcnt(6)
	v_add_f32_e32 v2, v2, v16
	s_waitcnt lgkmcnt(5)
	v_add_f32_e32 v7, v7, v18
	;; [unrolled: 2-line block ×3, first 2 shown]
	v_lshlrev_b32_e32 v17, 2, v4
	s_waitcnt lgkmcnt(3)
	v_add_f32_e32 v11, v5, v13
	s_waitcnt lgkmcnt(2)
	v_add_f32_e32 v13, v9, v14
	;; [unrolled: 2-line block ×4, first 2 shown]
	ds_bpermute_b32 v3, v17, v2
	ds_bpermute_b32 v4, v17, v6
	;; [unrolled: 1-line block ×8, first 2 shown]
	s_and_saveexec_b32 s0, vcc_lo
	s_cbranch_execz .LBB30_4
; %bb.3:
	v_and_b32_e32 v0, 8, v0
	s_clause 0x2
	s_load_dword s7, s[4:5], 0x20
	s_load_dwordx2 s[0:1], s[4:5], 0x30
	s_load_dwordx2 s[8:9], s[4:5], 0x18
	v_cmp_eq_u32_e32 vcc_lo, 0, v0
	v_cndmask_b32_e64 v0, -v16, v16, vcc_lo
	v_cndmask_b32_e64 v15, -v15, v15, vcc_lo
	;; [unrolled: 1-line block ×5, first 2 shown]
	s_waitcnt lgkmcnt(0)
	v_add_f32_e32 v0, v0, v17
	v_add_f32_e32 v14, v15, v14
	v_cndmask_b32_e64 v7, -v7, v7, vcc_lo
	v_cndmask_b32_e64 v6, -v6, v6, vcc_lo
	v_add_f32_e32 v12, v13, v12
	v_mul_f32_e32 v0, s7, v0
	v_add_f32_e32 v10, v11, v10
	v_add_f32_e32 v8, v8, v9
	v_mul_f32_e32 v9, s7, v14
	v_cndmask_b32_e64 v2, -v2, v2, vcc_lo
	v_bfe_u32 v11, v0, 16, 1
	v_add_f32_e32 v5, v7, v5
	v_add_f32_e32 v4, v6, v4
	v_bfe_u32 v6, v9, 16, 1
	v_add_f32_e32 v2, v2, v3
	v_add3_u32 v3, v11, v0, 0x7fff
	v_mul_f32_e32 v7, s7, v12
	v_or_b32_e32 v11, 0x400000, v0
	v_cmp_u_f32_e32 vcc_lo, v0, v0
	v_add3_u32 v6, v6, v9, 0x7fff
	v_mul_f32_e32 v10, s7, v10
	v_or_b32_e32 v12, 0x400000, v9
	v_bfe_u32 v13, v7, 16, 1
	v_cndmask_b32_e32 v0, v3, v11, vcc_lo
	v_cmp_u_f32_e32 vcc_lo, v9, v9
	v_bfe_u32 v3, v10, 16, 1
	v_or_b32_e32 v11, 0x400000, v7
	v_add3_u32 v9, v13, v7, 0x7fff
	v_mul_f32_e32 v8, s7, v8
	v_cndmask_b32_e32 v6, v6, v12, vcc_lo
	v_cmp_u_f32_e32 vcc_lo, v7, v7
	v_add3_u32 v3, v3, v10, 0x7fff
	v_or_b32_e32 v12, 0x400000, v10
	v_mul_f32_e32 v5, s7, v5
	v_mul_f32_e32 v4, s7, v4
	v_cndmask_b32_e32 v7, v9, v11, vcc_lo
	v_bfe_u32 v9, v8, 16, 1
	v_cmp_u_f32_e32 vcc_lo, v10, v10
	v_or_b32_e32 v10, 0x400000, v8
	v_bfe_u32 v11, v5, 16, 1
	v_mul_f32_e32 v2, s7, v2
	v_add3_u32 v9, v9, v8, 0x7fff
	v_cndmask_b32_e32 v3, v3, v12, vcc_lo
	v_cmp_u_f32_e32 vcc_lo, v8, v8
	v_bfe_u32 v12, v4, 16, 1
	v_or_b32_e32 v13, 0x400000, v4
	v_or_b32_e32 v14, 0x400000, v2
	s_mul_i32 s3, s8, s2
	v_cndmask_b32_e32 v8, v9, v10, vcc_lo
	v_add3_u32 v10, v11, v5, 0x7fff
	v_or_b32_e32 v11, 0x400000, v5
	v_cmp_u_f32_e32 vcc_lo, v5, v5
	v_bfe_u32 v9, v2, 16, 1
	v_add3_u32 v12, v12, v4, 0x7fff
	s_mul_hi_u32 s4, s8, s6
	s_mul_i32 s5, s9, s6
	v_cndmask_b32_e32 v10, v10, v11, vcc_lo
	v_cmp_u_f32_e32 vcc_lo, v4, v4
	v_add3_u32 v9, v9, v2, 0x7fff
	s_add_i32 s3, s4, s3
	s_mul_i32 s2, s8, s6
	s_add_i32 s3, s3, s5
	v_cndmask_b32_e32 v11, v12, v13, vcc_lo
	v_cmp_u_f32_e32 vcc_lo, v2, v2
	s_lshl_b64 s[2:3], s[2:3], 1
	v_perm_b32 v5, v0, v6, 0x7060302
	v_perm_b32 v4, v7, v3, 0x7060302
	;; [unrolled: 1-line block ×3, first 2 shown]
	v_cndmask_b32_e32 v2, v9, v14, vcc_lo
	s_add_u32 s0, s0, s2
	s_addc_u32 s1, s1, s3
	v_perm_b32 v2, v11, v2, 0x7060302
	global_store_dwordx4 v1, v[2:5], s[0:1]
.LBB30_4:
	s_endpgm
	.section	.rodata,"a",@progbits
	.p2align	6, 0x0
	.amdhsa_kernel _Z30fast_hadamard_transform_kernelI37fast_hadamard_transform_kernel_traitsILi16ELi7E14__hip_bfloat16EEv18HadamardParamsBase
		.amdhsa_group_segment_fixed_size 0
		.amdhsa_private_segment_fixed_size 0
		.amdhsa_kernarg_size 56
		.amdhsa_user_sgpr_count 6
		.amdhsa_user_sgpr_private_segment_buffer 1
		.amdhsa_user_sgpr_dispatch_ptr 0
		.amdhsa_user_sgpr_queue_ptr 0
		.amdhsa_user_sgpr_kernarg_segment_ptr 1
		.amdhsa_user_sgpr_dispatch_id 0
		.amdhsa_user_sgpr_flat_scratch_init 0
		.amdhsa_user_sgpr_private_segment_size 0
		.amdhsa_wavefront_size32 1
		.amdhsa_uses_dynamic_stack 0
		.amdhsa_system_sgpr_private_segment_wavefront_offset 0
		.amdhsa_system_sgpr_workgroup_id_x 1
		.amdhsa_system_sgpr_workgroup_id_y 0
		.amdhsa_system_sgpr_workgroup_id_z 0
		.amdhsa_system_sgpr_workgroup_info 0
		.amdhsa_system_vgpr_workitem_id 0
		.amdhsa_next_free_vgpr 22
		.amdhsa_next_free_sgpr 12
		.amdhsa_reserve_vcc 1
		.amdhsa_reserve_flat_scratch 0
		.amdhsa_float_round_mode_32 0
		.amdhsa_float_round_mode_16_64 0
		.amdhsa_float_denorm_mode_32 3
		.amdhsa_float_denorm_mode_16_64 3
		.amdhsa_dx10_clamp 1
		.amdhsa_ieee_mode 1
		.amdhsa_fp16_overflow 0
		.amdhsa_workgroup_processor_mode 1
		.amdhsa_memory_ordered 1
		.amdhsa_forward_progress 1
		.amdhsa_shared_vgpr_count 0
		.amdhsa_exception_fp_ieee_invalid_op 0
		.amdhsa_exception_fp_denorm_src 0
		.amdhsa_exception_fp_ieee_div_zero 0
		.amdhsa_exception_fp_ieee_overflow 0
		.amdhsa_exception_fp_ieee_underflow 0
		.amdhsa_exception_fp_ieee_inexact 0
		.amdhsa_exception_int_div_zero 0
	.end_amdhsa_kernel
	.section	.text._Z30fast_hadamard_transform_kernelI37fast_hadamard_transform_kernel_traitsILi16ELi7E14__hip_bfloat16EEv18HadamardParamsBase,"axG",@progbits,_Z30fast_hadamard_transform_kernelI37fast_hadamard_transform_kernel_traitsILi16ELi7E14__hip_bfloat16EEv18HadamardParamsBase,comdat
.Lfunc_end30:
	.size	_Z30fast_hadamard_transform_kernelI37fast_hadamard_transform_kernel_traitsILi16ELi7E14__hip_bfloat16EEv18HadamardParamsBase, .Lfunc_end30-_Z30fast_hadamard_transform_kernelI37fast_hadamard_transform_kernel_traitsILi16ELi7E14__hip_bfloat16EEv18HadamardParamsBase
                                        ; -- End function
	.set _Z30fast_hadamard_transform_kernelI37fast_hadamard_transform_kernel_traitsILi16ELi7E14__hip_bfloat16EEv18HadamardParamsBase.num_vgpr, 22
	.set _Z30fast_hadamard_transform_kernelI37fast_hadamard_transform_kernel_traitsILi16ELi7E14__hip_bfloat16EEv18HadamardParamsBase.num_agpr, 0
	.set _Z30fast_hadamard_transform_kernelI37fast_hadamard_transform_kernel_traitsILi16ELi7E14__hip_bfloat16EEv18HadamardParamsBase.numbered_sgpr, 12
	.set _Z30fast_hadamard_transform_kernelI37fast_hadamard_transform_kernel_traitsILi16ELi7E14__hip_bfloat16EEv18HadamardParamsBase.num_named_barrier, 0
	.set _Z30fast_hadamard_transform_kernelI37fast_hadamard_transform_kernel_traitsILi16ELi7E14__hip_bfloat16EEv18HadamardParamsBase.private_seg_size, 0
	.set _Z30fast_hadamard_transform_kernelI37fast_hadamard_transform_kernel_traitsILi16ELi7E14__hip_bfloat16EEv18HadamardParamsBase.uses_vcc, 1
	.set _Z30fast_hadamard_transform_kernelI37fast_hadamard_transform_kernel_traitsILi16ELi7E14__hip_bfloat16EEv18HadamardParamsBase.uses_flat_scratch, 0
	.set _Z30fast_hadamard_transform_kernelI37fast_hadamard_transform_kernel_traitsILi16ELi7E14__hip_bfloat16EEv18HadamardParamsBase.has_dyn_sized_stack, 0
	.set _Z30fast_hadamard_transform_kernelI37fast_hadamard_transform_kernel_traitsILi16ELi7E14__hip_bfloat16EEv18HadamardParamsBase.has_recursion, 0
	.set _Z30fast_hadamard_transform_kernelI37fast_hadamard_transform_kernel_traitsILi16ELi7E14__hip_bfloat16EEv18HadamardParamsBase.has_indirect_call, 0
	.section	.AMDGPU.csdata,"",@progbits
; Kernel info:
; codeLenInByte = 1624
; TotalNumSgprs: 14
; NumVgprs: 22
; ScratchSize: 0
; MemoryBound: 0
; FloatMode: 240
; IeeeMode: 1
; LDSByteSize: 0 bytes/workgroup (compile time only)
; SGPRBlocks: 0
; VGPRBlocks: 2
; NumSGPRsForWavesPerEU: 14
; NumVGPRsForWavesPerEU: 22
; Occupancy: 16
; WaveLimiterHint : 0
; COMPUTE_PGM_RSRC2:SCRATCH_EN: 0
; COMPUTE_PGM_RSRC2:USER_SGPR: 6
; COMPUTE_PGM_RSRC2:TRAP_HANDLER: 0
; COMPUTE_PGM_RSRC2:TGID_X_EN: 1
; COMPUTE_PGM_RSRC2:TGID_Y_EN: 0
; COMPUTE_PGM_RSRC2:TGID_Z_EN: 0
; COMPUTE_PGM_RSRC2:TIDIG_COMP_CNT: 0
	.section	.text._Z30fast_hadamard_transform_kernelI37fast_hadamard_transform_kernel_traitsILi32ELi8E14__hip_bfloat16EEv18HadamardParamsBase,"axG",@progbits,_Z30fast_hadamard_transform_kernelI37fast_hadamard_transform_kernel_traitsILi32ELi8E14__hip_bfloat16EEv18HadamardParamsBase,comdat
	.protected	_Z30fast_hadamard_transform_kernelI37fast_hadamard_transform_kernel_traitsILi32ELi8E14__hip_bfloat16EEv18HadamardParamsBase ; -- Begin function _Z30fast_hadamard_transform_kernelI37fast_hadamard_transform_kernel_traitsILi32ELi8E14__hip_bfloat16EEv18HadamardParamsBase
	.globl	_Z30fast_hadamard_transform_kernelI37fast_hadamard_transform_kernel_traitsILi32ELi8E14__hip_bfloat16EEv18HadamardParamsBase
	.p2align	8
	.type	_Z30fast_hadamard_transform_kernelI37fast_hadamard_transform_kernel_traitsILi32ELi8E14__hip_bfloat16EEv18HadamardParamsBase,@function
_Z30fast_hadamard_transform_kernelI37fast_hadamard_transform_kernel_traitsILi32ELi8E14__hip_bfloat16EEv18HadamardParamsBase: ; @_Z30fast_hadamard_transform_kernelI37fast_hadamard_transform_kernel_traitsILi32ELi8E14__hip_bfloat16EEv18HadamardParamsBase
; %bb.0:
	s_load_dword s0, s[4:5], 0x4
	v_lshlrev_b32_e32 v9, 3, v0
	v_mov_b32_e32 v2, 0
	v_mov_b32_e32 v3, 0
	;; [unrolled: 1-line block ×7, first 2 shown]
	v_lshlrev_b32_e32 v1, 4, v0
	s_ashr_i32 s2, s6, 31
	s_waitcnt lgkmcnt(0)
	v_cmp_gt_u32_e32 vcc_lo, s0, v9
	v_mov_b32_e32 v9, 0
	s_and_saveexec_b32 s0, vcc_lo
	s_cbranch_execz .LBB31_2
; %bb.1:
	s_clause 0x1
	s_load_dwordx2 s[8:9], s[4:5], 0x10
	s_load_dwordx2 s[10:11], s[4:5], 0x28
	s_waitcnt lgkmcnt(0)
	s_mul_i32 s1, s8, s2
	s_mul_hi_u32 s3, s8, s6
	s_mul_i32 s7, s9, s6
	s_add_i32 s1, s3, s1
	s_mul_i32 s8, s8, s6
	s_add_i32 s9, s1, s7
	s_lshl_b64 s[8:9], s[8:9], 1
	s_add_u32 s8, s10, s8
	s_addc_u32 s9, s11, s9
	global_load_dwordx4 v[10:13], v1, s[8:9]
	s_waitcnt vmcnt(0)
	v_lshlrev_b32_e32 v9, 16, v10
	v_and_b32_e32 v8, 0xffff0000, v10
	v_lshlrev_b32_e32 v7, 16, v11
	v_and_b32_e32 v6, 0xffff0000, v11
	;; [unrolled: 2-line block ×4, first 2 shown]
.LBB31_2:
	s_or_b32 exec_lo, exec_lo, s0
	v_mbcnt_lo_u32_b32 v10, -1, 0
	v_add_f32_e32 v11, v8, v9
	v_add_f32_e32 v12, v6, v7
	;; [unrolled: 1-line block ×4, first 2 shown]
	v_xor_b32_e32 v15, 1, v10
	v_sub_f32_e32 v8, v9, v8
	v_add_f32_e32 v9, v12, v11
	v_sub_f32_e32 v6, v7, v6
	v_add_f32_e32 v16, v14, v13
	v_cmp_gt_i32_e64 s0, 32, v15
	v_sub_f32_e32 v4, v5, v4
	v_sub_f32_e32 v2, v3, v2
	;; [unrolled: 1-line block ×3, first 2 shown]
	v_add_f32_e32 v3, v16, v9
	v_cndmask_b32_e64 v15, v10, v15, s0
	v_add_f32_e32 v11, v6, v8
	v_sub_f32_e32 v6, v8, v6
	v_add_f32_e32 v8, v2, v4
	v_sub_f32_e32 v13, v13, v14
	v_lshlrev_b32_e32 v5, 2, v15
	v_sub_f32_e32 v2, v4, v2
	v_and_b32_e32 v4, 1, v0
	v_xor_b32_e32 v14, 2, v10
	v_add_f32_e32 v15, v8, v11
	ds_bpermute_b32 v12, v5, v3
	v_add_f32_e32 v17, v13, v7
	v_add_f32_e32 v18, v2, v6
	v_sub_f32_e32 v9, v9, v16
	v_sub_f32_e32 v8, v11, v8
	ds_bpermute_b32 v11, v5, v15
	ds_bpermute_b32 v16, v5, v17
	ds_bpermute_b32 v19, v5, v18
	ds_bpermute_b32 v20, v5, v9
	v_cmp_eq_u32_e64 s0, 0, v4
	v_sub_f32_e32 v4, v7, v13
	v_sub_f32_e32 v2, v6, v2
	v_cmp_gt_i32_e64 s1, 32, v14
	v_cndmask_b32_e64 v7, -v15, v15, s0
	ds_bpermute_b32 v15, v5, v4
	v_cndmask_b32_e64 v3, -v3, v3, s0
	v_cndmask_b32_e64 v6, v10, v14, s1
	ds_bpermute_b32 v14, v5, v8
	ds_bpermute_b32 v5, v5, v2
	v_cndmask_b32_e64 v13, -v18, v18, s0
	s_waitcnt lgkmcnt(7)
	v_add_f32_e32 v3, v3, v12
	v_cndmask_b32_e64 v12, -v17, v17, s0
	v_cndmask_b32_e64 v9, -v9, v9, s0
	v_lshlrev_b32_e32 v6, 2, v6
	s_waitcnt lgkmcnt(6)
	v_add_f32_e32 v7, v7, v11
	v_cndmask_b32_e64 v8, -v8, v8, s0
	s_waitcnt lgkmcnt(5)
	v_add_f32_e32 v11, v12, v16
	s_waitcnt lgkmcnt(4)
	v_add_f32_e32 v12, v13, v19
	;; [unrolled: 2-line block ×3, first 2 shown]
	v_cndmask_b32_e64 v4, -v4, v4, s0
	v_and_b32_e32 v13, 2, v0
	v_cndmask_b32_e64 v2, -v2, v2, s0
	ds_bpermute_b32 v16, v6, v7
	ds_bpermute_b32 v18, v6, v11
	s_waitcnt lgkmcnt(4)
	v_add_f32_e32 v4, v4, v15
	v_cmp_eq_u32_e64 s0, 0, v13
	ds_bpermute_b32 v13, v6, v9
	s_waitcnt lgkmcnt(4)
	v_add_f32_e32 v8, v8, v14
	s_waitcnt lgkmcnt(3)
	v_add_f32_e32 v2, v2, v5
	ds_bpermute_b32 v17, v6, v3
	ds_bpermute_b32 v19, v6, v12
	v_cndmask_b32_e64 v5, -v7, v7, s0
	v_cndmask_b32_e64 v7, -v11, v11, s0
	v_xor_b32_e32 v11, 4, v10
	ds_bpermute_b32 v14, v6, v8
	ds_bpermute_b32 v15, v6, v4
	;; [unrolled: 1-line block ×3, first 2 shown]
	v_cndmask_b32_e64 v9, -v9, v9, s0
	v_cmp_gt_i32_e64 s1, 32, v11
	v_cndmask_b32_e64 v3, -v3, v3, s0
	v_cndmask_b32_e64 v12, -v12, v12, s0
	;; [unrolled: 1-line block ×3, first 2 shown]
	s_waitcnt lgkmcnt(7)
	v_add_f32_e32 v5, v5, v16
	v_cndmask_b32_e64 v11, v10, v11, s1
	s_waitcnt lgkmcnt(6)
	v_add_f32_e32 v7, v7, v18
	v_cndmask_b32_e64 v4, -v4, v4, s0
	s_waitcnt lgkmcnt(5)
	v_add_f32_e32 v9, v9, v13
	v_and_b32_e32 v13, 4, v0
	v_lshlrev_b32_e32 v11, 2, v11
	v_cndmask_b32_e64 v2, -v2, v2, s0
	s_waitcnt lgkmcnt(4)
	v_add_f32_e32 v3, v3, v17
	s_waitcnt lgkmcnt(3)
	v_add_f32_e32 v12, v12, v19
	v_cmp_eq_u32_e64 s0, 0, v13
	ds_bpermute_b32 v17, v11, v5
	ds_bpermute_b32 v18, v11, v7
	s_waitcnt lgkmcnt(4)
	v_add_f32_e32 v8, v8, v14
	s_waitcnt lgkmcnt(3)
	v_add_f32_e32 v4, v4, v15
	;; [unrolled: 2-line block ×3, first 2 shown]
	ds_bpermute_b32 v16, v11, v3
	ds_bpermute_b32 v19, v11, v12
	v_cndmask_b32_e64 v6, -v7, v7, s0
	v_xor_b32_e32 v7, 8, v10
	ds_bpermute_b32 v13, v11, v9
	ds_bpermute_b32 v14, v11, v8
	;; [unrolled: 1-line block ×4, first 2 shown]
	v_cmp_gt_i32_e64 s1, 32, v7
	v_cndmask_b32_e64 v5, -v5, v5, s0
	v_cndmask_b32_e64 v3, -v3, v3, s0
	;; [unrolled: 1-line block ×4, first 2 shown]
	v_cndmask_b32_e64 v7, v10, v7, s1
	v_cndmask_b32_e64 v8, -v8, v8, s0
	s_waitcnt lgkmcnt(7)
	v_add_f32_e32 v5, v5, v17
	s_waitcnt lgkmcnt(6)
	v_add_f32_e32 v6, v6, v18
	v_cndmask_b32_e64 v4, -v4, v4, s0
	v_lshlrev_b32_e32 v7, 2, v7
	v_cndmask_b32_e64 v2, -v2, v2, s0
	s_waitcnt lgkmcnt(5)
	v_add_f32_e32 v3, v3, v16
	s_waitcnt lgkmcnt(4)
	v_add_f32_e32 v12, v12, v19
	v_and_b32_e32 v20, 8, v0
	ds_bpermute_b32 v17, v7, v5
	ds_bpermute_b32 v18, v7, v6
	s_waitcnt lgkmcnt(5)
	v_add_f32_e32 v9, v9, v13
	s_waitcnt lgkmcnt(4)
	v_add_f32_e32 v13, v8, v14
	;; [unrolled: 2-line block ×4, first 2 shown]
	ds_bpermute_b32 v16, v7, v3
	ds_bpermute_b32 v19, v7, v12
	v_cmp_eq_u32_e64 s0, 0, v20
	ds_bpermute_b32 v14, v7, v9
	ds_bpermute_b32 v15, v7, v13
	;; [unrolled: 1-line block ×4, first 2 shown]
	v_cndmask_b32_e64 v8, -v12, v12, s0
	v_xor_b32_e32 v12, 16, v10
	v_cndmask_b32_e64 v2, -v3, v3, s0
	v_cndmask_b32_e64 v3, -v5, v5, s0
	;; [unrolled: 1-line block ×4, first 2 shown]
	v_cmp_gt_i32_e64 s1, 32, v12
	s_waitcnt lgkmcnt(7)
	v_add_f32_e32 v6, v3, v17
	s_waitcnt lgkmcnt(6)
	v_add_f32_e32 v7, v5, v18
	v_cndmask_b32_e64 v5, -v9, v9, s0
	v_cndmask_b32_e64 v3, v10, v12, s1
	v_cndmask_b32_e64 v9, -v13, v13, s0
	v_cndmask_b32_e64 v10, -v11, v11, s0
	s_waitcnt lgkmcnt(5)
	v_add_f32_e32 v2, v2, v16
	s_waitcnt lgkmcnt(4)
	v_add_f32_e32 v8, v8, v19
	v_lshlrev_b32_e32 v17, 2, v3
	s_waitcnt lgkmcnt(3)
	v_add_f32_e32 v11, v5, v14
	s_waitcnt lgkmcnt(2)
	v_add_f32_e32 v13, v9, v15
	;; [unrolled: 2-line block ×4, first 2 shown]
	ds_bpermute_b32 v3, v17, v2
	ds_bpermute_b32 v4, v17, v6
	;; [unrolled: 1-line block ×8, first 2 shown]
	s_and_saveexec_b32 s0, vcc_lo
	s_cbranch_execz .LBB31_4
; %bb.3:
	v_and_b32_e32 v0, 16, v0
	s_clause 0x2
	s_load_dword s7, s[4:5], 0x20
	s_load_dwordx2 s[0:1], s[4:5], 0x30
	s_load_dwordx2 s[8:9], s[4:5], 0x18
	v_cmp_eq_u32_e32 vcc_lo, 0, v0
	v_cndmask_b32_e64 v0, -v16, v16, vcc_lo
	v_cndmask_b32_e64 v15, -v15, v15, vcc_lo
	;; [unrolled: 1-line block ×5, first 2 shown]
	s_waitcnt lgkmcnt(0)
	v_add_f32_e32 v0, v0, v17
	v_add_f32_e32 v14, v15, v14
	v_cndmask_b32_e64 v7, -v7, v7, vcc_lo
	v_cndmask_b32_e64 v6, -v6, v6, vcc_lo
	v_add_f32_e32 v12, v13, v12
	v_mul_f32_e32 v0, s7, v0
	v_add_f32_e32 v10, v11, v10
	v_add_f32_e32 v8, v8, v9
	v_mul_f32_e32 v9, s7, v14
	v_cndmask_b32_e64 v2, -v2, v2, vcc_lo
	v_bfe_u32 v11, v0, 16, 1
	v_add_f32_e32 v5, v7, v5
	v_add_f32_e32 v4, v6, v4
	v_bfe_u32 v6, v9, 16, 1
	v_add_f32_e32 v2, v2, v3
	v_add3_u32 v3, v11, v0, 0x7fff
	v_mul_f32_e32 v7, s7, v12
	v_or_b32_e32 v11, 0x400000, v0
	v_cmp_u_f32_e32 vcc_lo, v0, v0
	v_add3_u32 v6, v6, v9, 0x7fff
	v_mul_f32_e32 v10, s7, v10
	v_or_b32_e32 v12, 0x400000, v9
	v_bfe_u32 v13, v7, 16, 1
	v_cndmask_b32_e32 v0, v3, v11, vcc_lo
	v_cmp_u_f32_e32 vcc_lo, v9, v9
	v_bfe_u32 v3, v10, 16, 1
	v_or_b32_e32 v11, 0x400000, v7
	v_add3_u32 v9, v13, v7, 0x7fff
	v_mul_f32_e32 v8, s7, v8
	v_cndmask_b32_e32 v6, v6, v12, vcc_lo
	v_cmp_u_f32_e32 vcc_lo, v7, v7
	v_add3_u32 v3, v3, v10, 0x7fff
	v_or_b32_e32 v12, 0x400000, v10
	v_mul_f32_e32 v5, s7, v5
	v_mul_f32_e32 v4, s7, v4
	v_cndmask_b32_e32 v7, v9, v11, vcc_lo
	v_bfe_u32 v9, v8, 16, 1
	v_cmp_u_f32_e32 vcc_lo, v10, v10
	v_or_b32_e32 v10, 0x400000, v8
	v_bfe_u32 v11, v5, 16, 1
	v_mul_f32_e32 v2, s7, v2
	v_add3_u32 v9, v9, v8, 0x7fff
	v_cndmask_b32_e32 v3, v3, v12, vcc_lo
	v_cmp_u_f32_e32 vcc_lo, v8, v8
	v_bfe_u32 v12, v4, 16, 1
	v_or_b32_e32 v13, 0x400000, v4
	v_or_b32_e32 v14, 0x400000, v2
	s_mul_i32 s3, s8, s2
	v_cndmask_b32_e32 v8, v9, v10, vcc_lo
	v_add3_u32 v10, v11, v5, 0x7fff
	v_or_b32_e32 v11, 0x400000, v5
	v_cmp_u_f32_e32 vcc_lo, v5, v5
	v_bfe_u32 v9, v2, 16, 1
	v_add3_u32 v12, v12, v4, 0x7fff
	s_mul_hi_u32 s4, s8, s6
	s_mul_i32 s5, s9, s6
	v_cndmask_b32_e32 v10, v10, v11, vcc_lo
	v_cmp_u_f32_e32 vcc_lo, v4, v4
	v_add3_u32 v9, v9, v2, 0x7fff
	s_add_i32 s3, s4, s3
	s_mul_i32 s2, s8, s6
	s_add_i32 s3, s3, s5
	v_cndmask_b32_e32 v11, v12, v13, vcc_lo
	v_cmp_u_f32_e32 vcc_lo, v2, v2
	s_lshl_b64 s[2:3], s[2:3], 1
	v_perm_b32 v5, v0, v6, 0x7060302
	v_perm_b32 v4, v7, v3, 0x7060302
	v_perm_b32 v3, v8, v10, 0x7060302
	v_cndmask_b32_e32 v2, v9, v14, vcc_lo
	s_add_u32 s0, s0, s2
	s_addc_u32 s1, s1, s3
	v_perm_b32 v2, v11, v2, 0x7060302
	global_store_dwordx4 v1, v[2:5], s[0:1]
.LBB31_4:
	s_endpgm
	.section	.rodata,"a",@progbits
	.p2align	6, 0x0
	.amdhsa_kernel _Z30fast_hadamard_transform_kernelI37fast_hadamard_transform_kernel_traitsILi32ELi8E14__hip_bfloat16EEv18HadamardParamsBase
		.amdhsa_group_segment_fixed_size 0
		.amdhsa_private_segment_fixed_size 0
		.amdhsa_kernarg_size 56
		.amdhsa_user_sgpr_count 6
		.amdhsa_user_sgpr_private_segment_buffer 1
		.amdhsa_user_sgpr_dispatch_ptr 0
		.amdhsa_user_sgpr_queue_ptr 0
		.amdhsa_user_sgpr_kernarg_segment_ptr 1
		.amdhsa_user_sgpr_dispatch_id 0
		.amdhsa_user_sgpr_flat_scratch_init 0
		.amdhsa_user_sgpr_private_segment_size 0
		.amdhsa_wavefront_size32 1
		.amdhsa_uses_dynamic_stack 0
		.amdhsa_system_sgpr_private_segment_wavefront_offset 0
		.amdhsa_system_sgpr_workgroup_id_x 1
		.amdhsa_system_sgpr_workgroup_id_y 0
		.amdhsa_system_sgpr_workgroup_id_z 0
		.amdhsa_system_sgpr_workgroup_info 0
		.amdhsa_system_vgpr_workitem_id 0
		.amdhsa_next_free_vgpr 22
		.amdhsa_next_free_sgpr 12
		.amdhsa_reserve_vcc 1
		.amdhsa_reserve_flat_scratch 0
		.amdhsa_float_round_mode_32 0
		.amdhsa_float_round_mode_16_64 0
		.amdhsa_float_denorm_mode_32 3
		.amdhsa_float_denorm_mode_16_64 3
		.amdhsa_dx10_clamp 1
		.amdhsa_ieee_mode 1
		.amdhsa_fp16_overflow 0
		.amdhsa_workgroup_processor_mode 1
		.amdhsa_memory_ordered 1
		.amdhsa_forward_progress 1
		.amdhsa_shared_vgpr_count 0
		.amdhsa_exception_fp_ieee_invalid_op 0
		.amdhsa_exception_fp_denorm_src 0
		.amdhsa_exception_fp_ieee_div_zero 0
		.amdhsa_exception_fp_ieee_overflow 0
		.amdhsa_exception_fp_ieee_underflow 0
		.amdhsa_exception_fp_ieee_inexact 0
		.amdhsa_exception_int_div_zero 0
	.end_amdhsa_kernel
	.section	.text._Z30fast_hadamard_transform_kernelI37fast_hadamard_transform_kernel_traitsILi32ELi8E14__hip_bfloat16EEv18HadamardParamsBase,"axG",@progbits,_Z30fast_hadamard_transform_kernelI37fast_hadamard_transform_kernel_traitsILi32ELi8E14__hip_bfloat16EEv18HadamardParamsBase,comdat
.Lfunc_end31:
	.size	_Z30fast_hadamard_transform_kernelI37fast_hadamard_transform_kernel_traitsILi32ELi8E14__hip_bfloat16EEv18HadamardParamsBase, .Lfunc_end31-_Z30fast_hadamard_transform_kernelI37fast_hadamard_transform_kernel_traitsILi32ELi8E14__hip_bfloat16EEv18HadamardParamsBase
                                        ; -- End function
	.set _Z30fast_hadamard_transform_kernelI37fast_hadamard_transform_kernel_traitsILi32ELi8E14__hip_bfloat16EEv18HadamardParamsBase.num_vgpr, 22
	.set _Z30fast_hadamard_transform_kernelI37fast_hadamard_transform_kernel_traitsILi32ELi8E14__hip_bfloat16EEv18HadamardParamsBase.num_agpr, 0
	.set _Z30fast_hadamard_transform_kernelI37fast_hadamard_transform_kernel_traitsILi32ELi8E14__hip_bfloat16EEv18HadamardParamsBase.numbered_sgpr, 12
	.set _Z30fast_hadamard_transform_kernelI37fast_hadamard_transform_kernel_traitsILi32ELi8E14__hip_bfloat16EEv18HadamardParamsBase.num_named_barrier, 0
	.set _Z30fast_hadamard_transform_kernelI37fast_hadamard_transform_kernel_traitsILi32ELi8E14__hip_bfloat16EEv18HadamardParamsBase.private_seg_size, 0
	.set _Z30fast_hadamard_transform_kernelI37fast_hadamard_transform_kernel_traitsILi32ELi8E14__hip_bfloat16EEv18HadamardParamsBase.uses_vcc, 1
	.set _Z30fast_hadamard_transform_kernelI37fast_hadamard_transform_kernel_traitsILi32ELi8E14__hip_bfloat16EEv18HadamardParamsBase.uses_flat_scratch, 0
	.set _Z30fast_hadamard_transform_kernelI37fast_hadamard_transform_kernel_traitsILi32ELi8E14__hip_bfloat16EEv18HadamardParamsBase.has_dyn_sized_stack, 0
	.set _Z30fast_hadamard_transform_kernelI37fast_hadamard_transform_kernel_traitsILi32ELi8E14__hip_bfloat16EEv18HadamardParamsBase.has_recursion, 0
	.set _Z30fast_hadamard_transform_kernelI37fast_hadamard_transform_kernel_traitsILi32ELi8E14__hip_bfloat16EEv18HadamardParamsBase.has_indirect_call, 0
	.section	.AMDGPU.csdata,"",@progbits
; Kernel info:
; codeLenInByte = 1856
; TotalNumSgprs: 14
; NumVgprs: 22
; ScratchSize: 0
; MemoryBound: 0
; FloatMode: 240
; IeeeMode: 1
; LDSByteSize: 0 bytes/workgroup (compile time only)
; SGPRBlocks: 0
; VGPRBlocks: 2
; NumSGPRsForWavesPerEU: 14
; NumVGPRsForWavesPerEU: 22
; Occupancy: 16
; WaveLimiterHint : 0
; COMPUTE_PGM_RSRC2:SCRATCH_EN: 0
; COMPUTE_PGM_RSRC2:USER_SGPR: 6
; COMPUTE_PGM_RSRC2:TRAP_HANDLER: 0
; COMPUTE_PGM_RSRC2:TGID_X_EN: 1
; COMPUTE_PGM_RSRC2:TGID_Y_EN: 0
; COMPUTE_PGM_RSRC2:TGID_Z_EN: 0
; COMPUTE_PGM_RSRC2:TIDIG_COMP_CNT: 0
	.section	.text._Z30fast_hadamard_transform_kernelI37fast_hadamard_transform_kernel_traitsILi32ELi9E14__hip_bfloat16EEv18HadamardParamsBase,"axG",@progbits,_Z30fast_hadamard_transform_kernelI37fast_hadamard_transform_kernel_traitsILi32ELi9E14__hip_bfloat16EEv18HadamardParamsBase,comdat
	.protected	_Z30fast_hadamard_transform_kernelI37fast_hadamard_transform_kernel_traitsILi32ELi9E14__hip_bfloat16EEv18HadamardParamsBase ; -- Begin function _Z30fast_hadamard_transform_kernelI37fast_hadamard_transform_kernel_traitsILi32ELi9E14__hip_bfloat16EEv18HadamardParamsBase
	.globl	_Z30fast_hadamard_transform_kernelI37fast_hadamard_transform_kernel_traitsILi32ELi9E14__hip_bfloat16EEv18HadamardParamsBase
	.p2align	8
	.type	_Z30fast_hadamard_transform_kernelI37fast_hadamard_transform_kernel_traitsILi32ELi9E14__hip_bfloat16EEv18HadamardParamsBase,@function
_Z30fast_hadamard_transform_kernelI37fast_hadamard_transform_kernel_traitsILi32ELi9E14__hip_bfloat16EEv18HadamardParamsBase: ; @_Z30fast_hadamard_transform_kernelI37fast_hadamard_transform_kernel_traitsILi32ELi9E14__hip_bfloat16EEv18HadamardParamsBase
; %bb.0:
	s_clause 0x3
	s_load_dwordx4 s[12:15], s[4:5], 0x10
	s_load_dword s1, s[4:5], 0x4
	s_load_dwordx4 s[8:11], s[4:5], 0x28
	s_load_dword s16, s[4:5], 0x44
	s_ashr_i32 s7, s6, 31
	v_lshlrev_b32_e32 v1, 3, v0
	v_mov_b32_e32 v3, 0
	v_mov_b32_e32 v4, 0
	;; [unrolled: 1-line block ×8, first 2 shown]
	v_lshlrev_b32_e32 v2, 4, v0
	v_mov_b32_e32 v11, 0
	s_waitcnt lgkmcnt(0)
	s_mul_hi_u32 s0, s12, s6
	s_mul_i32 s2, s12, s7
	s_mul_i32 s3, s13, s6
	s_add_i32 s0, s0, s2
	s_mul_i32 s2, s12, s6
	s_add_i32 s3, s0, s3
	v_cmp_gt_u32_e64 s0, s1, v1
	s_lshl_b64 s[2:3], s[2:3], 1
	s_add_u32 s2, s8, s2
	s_addc_u32 s3, s9, s3
	s_and_saveexec_b32 s8, s0
	s_cbranch_execz .LBB32_2
; %bb.1:
	global_load_dwordx4 v[12:15], v2, s[2:3]
	s_waitcnt vmcnt(0)
	v_lshlrev_b32_e32 v11, 16, v12
	v_and_b32_e32 v10, 0xffff0000, v12
	v_lshlrev_b32_e32 v9, 16, v13
	v_and_b32_e32 v8, 0xffff0000, v13
	;; [unrolled: 2-line block ×4, first 2 shown]
.LBB32_2:
	s_or_b32 exec_lo, exec_lo, s8
	s_and_b32 s8, 0xffff, s16
	v_mov_b32_e32 v12, 0
	v_add_nc_u32_e32 v1, s8, v0
	v_mov_b32_e32 v13, 0
	v_mov_b32_e32 v14, 0
	;; [unrolled: 1-line block ×4, first 2 shown]
	v_lshlrev_b32_e32 v18, 3, v1
	v_mov_b32_e32 v17, 0
	v_lshlrev_b32_e32 v1, 4, v1
	v_cmp_gt_u32_e32 vcc_lo, s1, v18
	v_mov_b32_e32 v18, 0
	s_and_saveexec_b32 s1, vcc_lo
	s_cbranch_execz .LBB32_4
; %bb.3:
	global_load_dwordx4 v[19:22], v1, s[2:3]
	s_waitcnt vmcnt(0)
	v_lshlrev_b32_e32 v18, 16, v19
	v_and_b32_e32 v17, 0xffff0000, v19
	v_lshlrev_b32_e32 v16, 16, v20
	v_and_b32_e32 v15, 0xffff0000, v20
	;; [unrolled: 2-line block ×4, first 2 shown]
.LBB32_4:
	s_or_b32 exec_lo, exec_lo, s1
	v_mbcnt_lo_u32_b32 v20, -1, 0
	v_add_f32_e32 v19, v10, v11
	v_sub_f32_e32 v10, v11, v10
	v_add_f32_e32 v11, v17, v18
	v_sub_f32_e32 v17, v18, v17
	v_xor_b32_e32 v21, 1, v20
	v_add_f32_e32 v18, v8, v9
	v_sub_f32_e32 v8, v9, v8
	v_add_f32_e32 v9, v15, v16
	v_sub_f32_e32 v15, v16, v15
	;; [unrolled: 2-line block ×4, first 2 shown]
	v_add_f32_e32 v14, v4, v5
	v_cmp_gt_i32_e64 s1, 32, v21
	v_sub_f32_e32 v4, v5, v4
	v_add_f32_e32 v5, v3, v12
	v_sub_f32_e32 v3, v12, v3
	v_add_f32_e32 v12, v18, v19
	;; [unrolled: 2-line block ×6, first 2 shown]
	v_cndmask_b32_e64 v21, v20, v21, s1
	v_sub_f32_e32 v14, v16, v14
	v_add_f32_e32 v16, v5, v7
	v_sub_f32_e32 v5, v7, v5
	v_add_f32_e32 v7, v4, v6
	;; [unrolled: 2-line block ×4, first 2 shown]
	v_lshlrev_b32_e32 v21, 2, v21
	v_sub_f32_e32 v12, v12, v17
	v_add_f32_e32 v17, v16, v19
	v_sub_f32_e32 v16, v19, v16
	v_add_f32_e32 v19, v7, v11
	ds_bpermute_b32 v22, v21, v13
	v_sub_f32_e32 v7, v11, v7
	v_add_f32_e32 v11, v6, v10
	v_sub_f32_e32 v6, v10, v6
	v_add_f32_e32 v10, v14, v18
	v_sub_f32_e32 v14, v18, v14
	v_and_b32_e32 v18, 1, v0
	ds_bpermute_b32 v24, v21, v19
	v_add_f32_e32 v23, v4, v8
	v_sub_f32_e32 v4, v8, v4
	v_add_f32_e32 v29, v5, v9
	v_cmp_eq_u32_e64 s2, 0, v18
	v_sub_f32_e32 v5, v9, v5
	v_add_f32_e32 v8, v3, v15
	v_sub_f32_e32 v3, v15, v3
	ds_bpermute_b32 v15, v21, v14
	v_cndmask_b32_e64 v13, -v13, v13, s2
	ds_bpermute_b32 v18, v21, v4
	ds_bpermute_b32 v25, v21, v10
	;; [unrolled: 1-line block ×4, first 2 shown]
	s_waitcnt lgkmcnt(6)
	v_add_f32_e32 v9, v13, v22
	v_cndmask_b32_e64 v13, -v19, v19, s2
	ds_bpermute_b32 v28, v21, v7
	ds_bpermute_b32 v22, v21, v17
	v_cndmask_b32_e64 v19, -v23, v23, s2
	ds_bpermute_b32 v23, v21, v11
	s_waitcnt lgkmcnt(8)
	v_add_f32_e32 v13, v13, v24
	v_xor_b32_e32 v24, 2, v20
	v_cndmask_b32_e64 v14, -v14, v14, s2
	v_cndmask_b32_e64 v4, -v4, v4, s2
	;; [unrolled: 1-line block ×4, first 2 shown]
	v_cmp_gt_i32_e64 s1, 32, v24
	v_cndmask_b32_e64 v7, -v7, v7, s2
	s_waitcnt lgkmcnt(7)
	v_add_f32_e32 v14, v14, v15
	v_cndmask_b32_e64 v11, -v11, v11, s2
	s_waitcnt lgkmcnt(6)
	v_add_f32_e32 v15, v4, v18
	v_cndmask_b32_e64 v24, v20, v24, s1
	v_cndmask_b32_e64 v4, -v17, v17, s2
	s_waitcnt lgkmcnt(5)
	v_add_f32_e32 v10, v10, v25
	s_waitcnt lgkmcnt(4)
	v_add_f32_e32 v19, v19, v26
	;; [unrolled: 2-line block ×3, first 2 shown]
	v_lshlrev_b32_e32 v17, 2, v24
	s_waitcnt lgkmcnt(2)
	v_add_f32_e32 v7, v7, v28
	ds_bpermute_b32 v25, v21, v29
	ds_bpermute_b32 v26, v21, v8
	;; [unrolled: 1-line block ×3, first 2 shown]
	v_cndmask_b32_e64 v18, -v29, v29, s2
	ds_bpermute_b32 v24, v21, v6
	ds_bpermute_b32 v28, v21, v5
	;; [unrolled: 1-line block ×4, first 2 shown]
	s_waitcnt lgkmcnt(8)
	v_add_f32_e32 v4, v4, v22
	v_xor_b32_e32 v22, 4, v20
	s_waitcnt lgkmcnt(7)
	v_add_f32_e32 v11, v11, v23
	v_and_b32_e32 v23, 2, v0
	v_cndmask_b32_e64 v6, -v6, v6, s2
	v_cndmask_b32_e64 v5, -v5, v5, s2
	v_cmp_gt_i32_e64 s1, 32, v22
	v_cndmask_b32_e64 v3, -v3, v3, s2
	v_cndmask_b32_e64 v8, -v8, v8, s2
	ds_bpermute_b32 v30, v17, v4
	ds_bpermute_b32 v31, v17, v11
	v_cndmask_b32_e64 v22, v20, v22, s1
	v_cmp_eq_u32_e64 s1, 0, v23
	s_waitcnt lgkmcnt(7)
	v_add_f32_e32 v8, v8, v26
	v_add_f32_e32 v18, v18, v25
	v_and_b32_e32 v34, 4, v0
	s_waitcnt lgkmcnt(5)
	v_add_f32_e32 v6, v6, v24
	v_cndmask_b32_e64 v9, -v9, v9, s1
	s_waitcnt lgkmcnt(4)
	v_add_f32_e32 v23, v5, v28
	ds_bpermute_b32 v24, v17, v19
	v_cndmask_b32_e64 v19, -v19, v19, s1
	v_lshlrev_b32_e32 v22, 2, v22
	s_waitcnt lgkmcnt(4)
	v_add_f32_e32 v5, v9, v29
	s_waitcnt lgkmcnt(3)
	v_add_f32_e32 v9, v3, v21
	ds_bpermute_b32 v21, v17, v10
	ds_bpermute_b32 v3, v17, v13
	v_cndmask_b32_e64 v10, -v10, v10, s1
	ds_bpermute_b32 v33, v17, v8
	ds_bpermute_b32 v25, v22, v5
	;; [unrolled: 1-line block ×3, first 2 shown]
	v_xor_b32_e32 v38, 8, v20
	v_cndmask_b32_e64 v13, -v13, v13, s1
	v_cndmask_b32_e64 v16, -v16, v16, s2
	v_cmp_eq_u32_e64 s3, 0, v34
	v_cndmask_b32_e64 v4, -v4, v4, s1
	v_cmp_gt_i32_e64 s2, 32, v38
	v_cndmask_b32_e64 v8, -v8, v8, s1
	s_load_dword s5, s[4:5], 0x20
	v_cndmask_b32_e64 v5, -v5, v5, s3
	s_waitcnt lgkmcnt(0)
	v_add_f32_e32 v19, v19, v24
	v_cndmask_b32_e64 v38, v20, v38, s2
	v_cndmask_b32_e64 v18, -v18, v18, s1
	v_add_f32_e32 v4, v4, v30
	v_cndmask_b32_e64 v11, -v11, v11, s1
	v_add_f32_e32 v10, v10, v21
	ds_bpermute_b32 v21, v22, v19
	v_add_f32_e32 v3, v13, v3
	v_xor_b32_e32 v13, 16, v20
	v_add_f32_e32 v8, v8, v33
	ds_bpermute_b32 v24, v22, v10
	v_cndmask_b32_e64 v10, -v10, v10, s3
	v_cndmask_b32_e64 v19, -v19, v19, s3
	v_cmp_gt_i32_e64 s4, 32, v13
	v_add_f32_e32 v5, v5, v25
	v_lshlrev_b32_e32 v25, 2, v38
	v_add_f32_e32 v18, v18, v32
	ds_bpermute_b32 v32, v22, v4
	v_cndmask_b32_e64 v13, v20, v13, s4
	ds_bpermute_b32 v20, v22, v8
	v_add_f32_e32 v11, v11, v31
	ds_bpermute_b32 v30, v22, v18
	v_and_b32_e32 v34, 8, v0
	v_cndmask_b32_e64 v8, -v8, v8, s3
	v_cndmask_b32_e64 v4, -v4, v4, s3
	ds_bpermute_b32 v31, v22, v11
	s_waitcnt lgkmcnt(5)
	v_add_f32_e32 v19, v19, v21
	v_cmp_eq_u32_e64 s2, 0, v34
	v_add_f32_e32 v16, v16, v27
	ds_bpermute_b32 v27, v17, v7
	s_waitcnt lgkmcnt(5)
	v_add_f32_e32 v10, v10, v24
	ds_bpermute_b32 v21, v25, v19
	ds_bpermute_b32 v28, v17, v14
	;; [unrolled: 1-line block ×5, first 2 shown]
	v_cndmask_b32_e64 v18, -v18, v18, s3
	s_waitcnt lgkmcnt(9)
	v_add_f32_e32 v4, v4, v32
	v_cndmask_b32_e64 v19, -v19, v19, s2
	s_waitcnt lgkmcnt(8)
	v_add_f32_e32 v8, v8, v20
	v_cndmask_b32_e64 v10, -v10, v10, s2
	ds_bpermute_b32 v26, v17, v12
	ds_bpermute_b32 v35, v17, v16
	;; [unrolled: 1-line block ×5, first 2 shown]
	v_lshlrev_b32_e32 v13, 2, v13
	v_cndmask_b32_e64 v11, -v11, v11, s3
	s_waitcnt lgkmcnt(12)
	v_add_f32_e32 v18, v18, v30
	ds_bpermute_b32 v20, v25, v8
	v_and_b32_e32 v0, 16, v0
	s_waitcnt lgkmcnt(10)
	v_add_f32_e32 v19, v19, v21
	v_add_f32_e32 v11, v11, v31
	ds_bpermute_b32 v30, v25, v18
	v_cndmask_b32_e64 v3, -v3, v3, s3
	s_waitcnt lgkmcnt(7)
	v_add_f32_e32 v10, v10, v24
	ds_bpermute_b32 v24, v25, v4
	ds_bpermute_b32 v31, v13, v19
	v_cndmask_b32_e64 v15, -v15, v15, s1
	v_cndmask_b32_e64 v14, -v14, v14, s1
	v_cndmask_b32_e64 v7, -v7, v7, s1
	s_mul_i32 s4, s14, s7
	s_mul_hi_u32 s7, s14, s6
	v_add_f32_e32 v3, v3, v34
	s_add_i32 s7, s7, s4
	v_cmp_eq_u32_e64 s4, 0, v0
	v_cndmask_b32_e64 v0, -v8, v8, s2
	v_cndmask_b32_e64 v4, -v4, v4, s2
	;; [unrolled: 1-line block ×3, first 2 shown]
	v_add_f32_e32 v15, v15, v29
	v_add_f32_e32 v14, v14, v28
	;; [unrolled: 1-line block ×3, first 2 shown]
	v_cndmask_b32_e64 v23, -v23, v23, s1
	v_cndmask_b32_e64 v9, -v9, v9, s1
	;; [unrolled: 1-line block ×4, first 2 shown]
	ds_bpermute_b32 v33, v25, v3
	v_cndmask_b32_e64 v8, -v18, v18, s2
	s_waitcnt lgkmcnt(4)
	v_add_f32_e32 v18, v0, v20
	v_cndmask_b32_e64 v0, -v19, v19, s4
	s_waitcnt lgkmcnt(2)
	v_add_f32_e32 v20, v4, v24
	v_add_f32_e32 v12, v12, v26
	ds_bpermute_b32 v24, v22, v15
	ds_bpermute_b32 v26, v22, v14
	;; [unrolled: 1-line block ×3, first 2 shown]
	v_add_f32_e32 v9, v9, v17
	v_add_f32_e32 v17, v23, v37
	;; [unrolled: 1-line block ×5, first 2 shown]
	s_waitcnt lgkmcnt(4)
	v_add_f32_e32 v0, v0, v31
	ds_bpermute_b32 v28, v22, v12
	ds_bpermute_b32 v23, v22, v9
	;; [unrolled: 1-line block ×6, first 2 shown]
	v_cndmask_b32_e64 v3, -v3, v3, s2
	v_cndmask_b32_e64 v14, -v14, v14, s3
	;; [unrolled: 1-line block ×4, first 2 shown]
	ds_bpermute_b32 v21, v25, v11
	s_waitcnt lgkmcnt(10)
	v_add_f32_e32 v3, v3, v33
	v_cndmask_b32_e64 v12, -v12, v12, s3
	s_waitcnt lgkmcnt(9)
	v_add_f32_e32 v15, v15, v24
	s_waitcnt lgkmcnt(8)
	v_add_f32_e32 v14, v14, v26
	s_waitcnt lgkmcnt(7)
	v_add_f32_e32 v7, v7, v27
	v_cndmask_b32_e64 v6, -v6, v6, s3
	v_cndmask_b32_e64 v17, -v17, v17, s3
	;; [unrolled: 1-line block ×5, first 2 shown]
	ds_bpermute_b32 v33, v13, v3
	s_waitcnt lgkmcnt(7)
	v_add_f32_e32 v12, v12, v28
	ds_bpermute_b32 v24, v25, v15
	ds_bpermute_b32 v26, v25, v14
	;; [unrolled: 1-line block ×3, first 2 shown]
	s_waitcnt lgkmcnt(9)
	v_add_f32_e32 v9, v9, v23
	s_waitcnt lgkmcnt(8)
	v_add_f32_e32 v17, v17, v30
	;; [unrolled: 2-line block ×5, first 2 shown]
	ds_bpermute_b32 v32, v13, v10
	ds_bpermute_b32 v28, v25, v12
	;; [unrolled: 1-line block ×7, first 2 shown]
	v_cndmask_b32_e64 v11, -v11, v11, s2
	v_cndmask_b32_e64 v19, -v3, v3, s4
	;; [unrolled: 1-line block ×5, first 2 shown]
	s_waitcnt lgkmcnt(11)
	v_add_f32_e32 v11, v11, v21
	v_cndmask_b32_e64 v10, -v10, v10, s4
	s_waitcnt lgkmcnt(10)
	v_add_f32_e32 v4, v19, v33
	ds_bpermute_b32 v21, v13, v8
	v_cndmask_b32_e64 v12, -v12, v12, s2
	ds_bpermute_b32 v19, v13, v11
	s_waitcnt lgkmcnt(11)
	v_add_f32_e32 v24, v15, v24
	s_waitcnt lgkmcnt(10)
	v_add_f32_e32 v26, v14, v26
	;; [unrolled: 2-line block ×3, first 2 shown]
	v_cndmask_b32_e64 v14, -v16, v16, s2
	v_cndmask_b32_e64 v6, -v6, v6, s2
	;; [unrolled: 1-line block ×5, first 2 shown]
	s_waitcnt lgkmcnt(8)
	v_add_f32_e32 v3, v10, v32
	ds_bpermute_b32 v10, v13, v20
	ds_bpermute_b32 v29, v13, v18
	s_waitcnt lgkmcnt(9)
	v_add_f32_e32 v12, v12, v28
	ds_bpermute_b32 v28, v13, v26
	ds_bpermute_b32 v31, v13, v7
	s_waitcnt lgkmcnt(10)
	v_add_f32_e32 v9, v9, v22
	s_waitcnt lgkmcnt(9)
	v_add_f32_e32 v22, v15, v23
	;; [unrolled: 2-line block ×5, first 2 shown]
	ds_bpermute_b32 v27, v13, v24
	ds_bpermute_b32 v30, v13, v12
	;; [unrolled: 1-line block ×6, first 2 shown]
	v_cndmask_b32_e64 v11, -v11, v11, s4
	v_cndmask_b32_e64 v8, -v8, v8, s4
	;; [unrolled: 1-line block ×5, first 2 shown]
	s_waitcnt lgkmcnt(10)
	v_add_f32_e32 v16, v11, v19
	v_add_f32_e32 v15, v8, v21
	v_cndmask_b32_e64 v8, -v26, v26, s4
	v_cndmask_b32_e64 v11, -v7, v7, s4
	s_waitcnt lgkmcnt(8)
	v_add_f32_e32 v14, v18, v29
	v_add_f32_e32 v17, v20, v10
	v_cndmask_b32_e64 v10, -v12, v12, s4
	s_waitcnt lgkmcnt(7)
	v_add_f32_e32 v7, v8, v28
	s_waitcnt lgkmcnt(6)
	v_add_f32_e32 v8, v11, v31
	v_cndmask_b32_e64 v9, -v9, v9, s4
	v_cndmask_b32_e64 v11, -v22, v22, s4
	;; [unrolled: 1-line block ×4, first 2 shown]
	s_mul_i32 s8, s15, s6
	s_mul_i32 s6, s14, s6
	s_add_i32 s7, s7, s8
	s_waitcnt lgkmcnt(5)
	v_add_f32_e32 v6, v6, v27
	s_lshl_b64 s[6:7], s[6:7], 1
	s_waitcnt lgkmcnt(4)
	v_add_f32_e32 v12, v10, v30
	s_waitcnt lgkmcnt(3)
	v_add_f32_e32 v9, v9, v32
	;; [unrolled: 2-line block ×5, first 2 shown]
	s_add_u32 s2, s10, s6
	s_addc_u32 s3, s11, s7
	s_and_saveexec_b32 s1, s0
	s_cbranch_execnz .LBB32_7
; %bb.5:
	s_or_b32 exec_lo, exec_lo, s1
	s_and_saveexec_b32 s0, vcc_lo
	s_cbranch_execnz .LBB32_8
.LBB32_6:
	s_endpgm
.LBB32_7:
	v_add_f32_e32 v18, v6, v9
	v_add_f32_e32 v19, v7, v10
	;; [unrolled: 1-line block ×5, first 2 shown]
	v_mul_f32_e32 v18, s5, v18
	v_mul_f32_e32 v19, s5, v19
	;; [unrolled: 1-line block ×4, first 2 shown]
	v_add_f32_e32 v23, v3, v15
	v_bfe_u32 v26, v18, 16, 1
	v_bfe_u32 v27, v19, 16, 1
	v_or_b32_e32 v28, 0x400000, v18
	v_cmp_u_f32_e64 s0, v18, v18
	v_or_b32_e32 v29, 0x400000, v19
	v_add3_u32 v26, v26, v18, 0x7fff
	v_bfe_u32 v30, v20, 16, 1
	v_add3_u32 v27, v27, v19, 0x7fff
	v_mul_f32_e32 v22, s5, v22
	v_add_f32_e32 v24, v4, v16
	v_cndmask_b32_e64 v18, v26, v28, s0
	v_cmp_u_f32_e64 s0, v19, v19
	v_bfe_u32 v26, v21, 16, 1
	v_or_b32_e32 v28, 0x400000, v20
	v_add_f32_e32 v25, v5, v17
	v_cndmask_b32_e64 v19, v27, v29, s0
	v_add3_u32 v27, v30, v20, 0x7fff
	v_cmp_u_f32_e64 s0, v20, v20
	v_add3_u32 v26, v26, v21, 0x7fff
	v_or_b32_e32 v29, 0x400000, v21
	v_mul_f32_e32 v25, s5, v25
	v_cndmask_b32_e64 v20, v27, v28, s0
	v_bfe_u32 v27, v22, 16, 1
	v_cmp_u_f32_e64 s0, v21, v21
	v_mul_f32_e32 v21, s5, v23
	v_mul_f32_e32 v23, s5, v24
	v_or_b32_e32 v31, 0x400000, v25
	v_add3_u32 v24, v27, v22, 0x7fff
	v_cndmask_b32_e64 v26, v26, v29, s0
	v_or_b32_e32 v27, 0x400000, v22
	v_bfe_u32 v28, v21, 16, 1
	v_cmp_u_f32_e64 s0, v22, v22
	v_bfe_u32 v29, v23, 16, 1
	v_or_b32_e32 v30, 0x400000, v23
	v_perm_b32 v20, v20, v26, 0x7060302
	v_cndmask_b32_e64 v22, v24, v27, s0
	v_add3_u32 v27, v28, v21, 0x7fff
	v_or_b32_e32 v28, 0x400000, v21
	v_cmp_u_f32_e64 s0, v21, v21
	v_bfe_u32 v24, v25, 16, 1
	v_add3_u32 v29, v29, v23, 0x7fff
	v_perm_b32 v21, v18, v19, 0x7060302
	v_cndmask_b32_e64 v27, v27, v28, s0
	v_cmp_u_f32_e64 s0, v23, v23
	v_add3_u32 v24, v24, v25, 0x7fff
	v_perm_b32 v19, v22, v27, 0x7060302
	v_cndmask_b32_e64 v23, v29, v30, s0
	v_cmp_u_f32_e64 s0, v25, v25
	v_cndmask_b32_e64 v24, v24, v31, s0
	v_perm_b32 v18, v23, v24, 0x7060302
	global_store_dwordx4 v2, v[18:21], s[2:3]
	s_or_b32 exec_lo, exec_lo, s1
	s_and_saveexec_b32 s0, vcc_lo
	s_cbranch_execz .LBB32_6
.LBB32_8:
	v_sub_f32_e32 v2, v5, v17
	v_sub_f32_e32 v3, v3, v15
	;; [unrolled: 1-line block ×5, first 2 shown]
	v_mul_f32_e32 v2, s5, v2
	v_mul_f32_e32 v3, s5, v3
	;; [unrolled: 1-line block ×4, first 2 shown]
	v_sub_f32_e32 v7, v7, v10
	v_bfe_u32 v12, v2, 16, 1
	v_or_b32_e32 v13, 0x400000, v2
	v_bfe_u32 v15, v3, 16, 1
	v_cmp_u_f32_e32 vcc_lo, v2, v2
	v_or_b32_e32 v17, 0x400000, v3
	v_add3_u32 v12, v12, v2, 0x7fff
	v_bfe_u32 v18, v0, 16, 1
	v_add3_u32 v15, v15, v3, 0x7fff
	v_sub_f32_e32 v6, v6, v9
	v_bfe_u32 v9, v5, 16, 1
	v_cndmask_b32_e32 v2, v12, v13, vcc_lo
	v_cmp_u_f32_e32 vcc_lo, v3, v3
	v_add3_u32 v12, v18, v0, 0x7fff
	v_or_b32_e32 v13, 0x400000, v0
	v_mul_f32_e32 v8, s5, v8
	v_mul_f32_e32 v7, s5, v7
	v_cndmask_b32_e32 v3, v15, v17, vcc_lo
	v_cmp_u_f32_e32 vcc_lo, v0, v0
	v_mul_f32_e32 v6, s5, v6
	v_add3_u32 v9, v9, v5, 0x7fff
	v_or_b32_e32 v10, 0x400000, v5
	v_bfe_u32 v11, v8, 16, 1
	v_cndmask_b32_e32 v0, v12, v13, vcc_lo
	v_bfe_u32 v12, v7, 16, 1
	v_cmp_u_f32_e32 vcc_lo, v5, v5
	v_sub_f32_e32 v4, v4, v16
	v_bfe_u32 v13, v6, 16, 1
	v_add3_u32 v5, v11, v8, 0x7fff
	v_or_b32_e32 v11, 0x400000, v7
	v_cndmask_b32_e32 v9, v9, v10, vcc_lo
	v_add3_u32 v10, v12, v7, 0x7fff
	v_cmp_u_f32_e32 vcc_lo, v7, v7
	v_mul_f32_e32 v4, s5, v4
	v_add3_u32 v12, v13, v6, 0x7fff
	v_or_b32_e32 v13, 0x400000, v6
	v_or_b32_e32 v15, 0x400000, v8
	v_cndmask_b32_e32 v7, v10, v11, vcc_lo
	v_cmp_u_f32_e32 vcc_lo, v6, v6
	v_bfe_u32 v14, v4, 16, 1
	v_or_b32_e32 v16, 0x400000, v4
	v_perm_b32 v3, v0, v3, 0x7060302
	v_cndmask_b32_e32 v6, v12, v13, vcc_lo
	v_cmp_u_f32_e32 vcc_lo, v8, v8
	v_add3_u32 v14, v14, v4, 0x7fff
	v_cndmask_b32_e32 v8, v5, v15, vcc_lo
	v_cmp_u_f32_e32 vcc_lo, v4, v4
	v_perm_b32 v5, v6, v7, 0x7060302
	v_perm_b32 v4, v8, v9, 0x7060302
	v_cndmask_b32_e32 v10, v14, v16, vcc_lo
	v_perm_b32 v2, v10, v2, 0x7060302
	global_store_dwordx4 v1, v[2:5], s[2:3]
	s_endpgm
	.section	.rodata,"a",@progbits
	.p2align	6, 0x0
	.amdhsa_kernel _Z30fast_hadamard_transform_kernelI37fast_hadamard_transform_kernel_traitsILi32ELi9E14__hip_bfloat16EEv18HadamardParamsBase
		.amdhsa_group_segment_fixed_size 0
		.amdhsa_private_segment_fixed_size 0
		.amdhsa_kernarg_size 312
		.amdhsa_user_sgpr_count 6
		.amdhsa_user_sgpr_private_segment_buffer 1
		.amdhsa_user_sgpr_dispatch_ptr 0
		.amdhsa_user_sgpr_queue_ptr 0
		.amdhsa_user_sgpr_kernarg_segment_ptr 1
		.amdhsa_user_sgpr_dispatch_id 0
		.amdhsa_user_sgpr_flat_scratch_init 0
		.amdhsa_user_sgpr_private_segment_size 0
		.amdhsa_wavefront_size32 1
		.amdhsa_uses_dynamic_stack 0
		.amdhsa_system_sgpr_private_segment_wavefront_offset 0
		.amdhsa_system_sgpr_workgroup_id_x 1
		.amdhsa_system_sgpr_workgroup_id_y 0
		.amdhsa_system_sgpr_workgroup_id_z 0
		.amdhsa_system_sgpr_workgroup_info 0
		.amdhsa_system_vgpr_workitem_id 0
		.amdhsa_next_free_vgpr 39
		.amdhsa_next_free_sgpr 17
		.amdhsa_reserve_vcc 1
		.amdhsa_reserve_flat_scratch 0
		.amdhsa_float_round_mode_32 0
		.amdhsa_float_round_mode_16_64 0
		.amdhsa_float_denorm_mode_32 3
		.amdhsa_float_denorm_mode_16_64 3
		.amdhsa_dx10_clamp 1
		.amdhsa_ieee_mode 1
		.amdhsa_fp16_overflow 0
		.amdhsa_workgroup_processor_mode 1
		.amdhsa_memory_ordered 1
		.amdhsa_forward_progress 1
		.amdhsa_shared_vgpr_count 0
		.amdhsa_exception_fp_ieee_invalid_op 0
		.amdhsa_exception_fp_denorm_src 0
		.amdhsa_exception_fp_ieee_div_zero 0
		.amdhsa_exception_fp_ieee_overflow 0
		.amdhsa_exception_fp_ieee_underflow 0
		.amdhsa_exception_fp_ieee_inexact 0
		.amdhsa_exception_int_div_zero 0
	.end_amdhsa_kernel
	.section	.text._Z30fast_hadamard_transform_kernelI37fast_hadamard_transform_kernel_traitsILi32ELi9E14__hip_bfloat16EEv18HadamardParamsBase,"axG",@progbits,_Z30fast_hadamard_transform_kernelI37fast_hadamard_transform_kernel_traitsILi32ELi9E14__hip_bfloat16EEv18HadamardParamsBase,comdat
.Lfunc_end32:
	.size	_Z30fast_hadamard_transform_kernelI37fast_hadamard_transform_kernel_traitsILi32ELi9E14__hip_bfloat16EEv18HadamardParamsBase, .Lfunc_end32-_Z30fast_hadamard_transform_kernelI37fast_hadamard_transform_kernel_traitsILi32ELi9E14__hip_bfloat16EEv18HadamardParamsBase
                                        ; -- End function
	.set _Z30fast_hadamard_transform_kernelI37fast_hadamard_transform_kernel_traitsILi32ELi9E14__hip_bfloat16EEv18HadamardParamsBase.num_vgpr, 39
	.set _Z30fast_hadamard_transform_kernelI37fast_hadamard_transform_kernel_traitsILi32ELi9E14__hip_bfloat16EEv18HadamardParamsBase.num_agpr, 0
	.set _Z30fast_hadamard_transform_kernelI37fast_hadamard_transform_kernel_traitsILi32ELi9E14__hip_bfloat16EEv18HadamardParamsBase.numbered_sgpr, 17
	.set _Z30fast_hadamard_transform_kernelI37fast_hadamard_transform_kernel_traitsILi32ELi9E14__hip_bfloat16EEv18HadamardParamsBase.num_named_barrier, 0
	.set _Z30fast_hadamard_transform_kernelI37fast_hadamard_transform_kernel_traitsILi32ELi9E14__hip_bfloat16EEv18HadamardParamsBase.private_seg_size, 0
	.set _Z30fast_hadamard_transform_kernelI37fast_hadamard_transform_kernel_traitsILi32ELi9E14__hip_bfloat16EEv18HadamardParamsBase.uses_vcc, 1
	.set _Z30fast_hadamard_transform_kernelI37fast_hadamard_transform_kernel_traitsILi32ELi9E14__hip_bfloat16EEv18HadamardParamsBase.uses_flat_scratch, 0
	.set _Z30fast_hadamard_transform_kernelI37fast_hadamard_transform_kernel_traitsILi32ELi9E14__hip_bfloat16EEv18HadamardParamsBase.has_dyn_sized_stack, 0
	.set _Z30fast_hadamard_transform_kernelI37fast_hadamard_transform_kernel_traitsILi32ELi9E14__hip_bfloat16EEv18HadamardParamsBase.has_recursion, 0
	.set _Z30fast_hadamard_transform_kernelI37fast_hadamard_transform_kernel_traitsILi32ELi9E14__hip_bfloat16EEv18HadamardParamsBase.has_indirect_call, 0
	.section	.AMDGPU.csdata,"",@progbits
; Kernel info:
; codeLenInByte = 3504
; TotalNumSgprs: 19
; NumVgprs: 39
; ScratchSize: 0
; MemoryBound: 0
; FloatMode: 240
; IeeeMode: 1
; LDSByteSize: 0 bytes/workgroup (compile time only)
; SGPRBlocks: 0
; VGPRBlocks: 4
; NumSGPRsForWavesPerEU: 19
; NumVGPRsForWavesPerEU: 39
; Occupancy: 16
; WaveLimiterHint : 0
; COMPUTE_PGM_RSRC2:SCRATCH_EN: 0
; COMPUTE_PGM_RSRC2:USER_SGPR: 6
; COMPUTE_PGM_RSRC2:TRAP_HANDLER: 0
; COMPUTE_PGM_RSRC2:TGID_X_EN: 1
; COMPUTE_PGM_RSRC2:TGID_Y_EN: 0
; COMPUTE_PGM_RSRC2:TGID_Z_EN: 0
; COMPUTE_PGM_RSRC2:TIDIG_COMP_CNT: 0
	.section	.text._Z30fast_hadamard_transform_kernelI37fast_hadamard_transform_kernel_traitsILi128ELi10E14__hip_bfloat16EEv18HadamardParamsBase,"axG",@progbits,_Z30fast_hadamard_transform_kernelI37fast_hadamard_transform_kernel_traitsILi128ELi10E14__hip_bfloat16EEv18HadamardParamsBase,comdat
	.protected	_Z30fast_hadamard_transform_kernelI37fast_hadamard_transform_kernel_traitsILi128ELi10E14__hip_bfloat16EEv18HadamardParamsBase ; -- Begin function _Z30fast_hadamard_transform_kernelI37fast_hadamard_transform_kernel_traitsILi128ELi10E14__hip_bfloat16EEv18HadamardParamsBase
	.globl	_Z30fast_hadamard_transform_kernelI37fast_hadamard_transform_kernel_traitsILi128ELi10E14__hip_bfloat16EEv18HadamardParamsBase
	.p2align	8
	.type	_Z30fast_hadamard_transform_kernelI37fast_hadamard_transform_kernel_traitsILi128ELi10E14__hip_bfloat16EEv18HadamardParamsBase,@function
_Z30fast_hadamard_transform_kernelI37fast_hadamard_transform_kernel_traitsILi128ELi10E14__hip_bfloat16EEv18HadamardParamsBase: ; @_Z30fast_hadamard_transform_kernelI37fast_hadamard_transform_kernel_traitsILi128ELi10E14__hip_bfloat16EEv18HadamardParamsBase
; %bb.0:
	s_load_dword s0, s[4:5], 0x4
	v_lshlrev_b32_e32 v9, 3, v0
	v_mov_b32_e32 v2, 0
	v_mov_b32_e32 v3, 0
	;; [unrolled: 1-line block ×7, first 2 shown]
	v_lshlrev_b32_e32 v1, 4, v0
	s_ashr_i32 s7, s6, 31
	s_waitcnt lgkmcnt(0)
	v_cmp_gt_u32_e32 vcc_lo, s0, v9
	v_mov_b32_e32 v9, 0
	s_and_saveexec_b32 s0, vcc_lo
	s_cbranch_execz .LBB33_2
; %bb.1:
	s_clause 0x1
	s_load_dwordx2 s[2:3], s[4:5], 0x10
	s_load_dwordx2 s[8:9], s[4:5], 0x28
	s_waitcnt lgkmcnt(0)
	s_mul_i32 s1, s2, s7
	s_mul_hi_u32 s10, s2, s6
	s_mul_i32 s3, s3, s6
	s_add_i32 s1, s10, s1
	s_mul_i32 s2, s2, s6
	s_add_i32 s3, s1, s3
	s_lshl_b64 s[2:3], s[2:3], 1
	s_add_u32 s2, s8, s2
	s_addc_u32 s3, s9, s3
	global_load_dwordx4 v[10:13], v1, s[2:3]
	s_waitcnt vmcnt(0)
	v_lshlrev_b32_e32 v9, 16, v10
	v_and_b32_e32 v8, 0xffff0000, v10
	v_lshlrev_b32_e32 v7, 16, v11
	v_and_b32_e32 v6, 0xffff0000, v11
	;; [unrolled: 2-line block ×4, first 2 shown]
.LBB33_2:
	s_or_b32 exec_lo, exec_lo, s0
	v_mbcnt_lo_u32_b32 v11, -1, 0
	v_add_f32_e32 v10, v8, v9
	v_sub_f32_e32 v8, v9, v8
	v_add_f32_e32 v9, v6, v7
	v_sub_f32_e32 v6, v7, v6
	v_xor_b32_e32 v12, 1, v11
	v_add_f32_e32 v7, v4, v5
	v_sub_f32_e32 v4, v5, v4
	v_add_f32_e32 v5, v2, v3
	v_sub_f32_e32 v2, v3, v2
	v_cmp_gt_i32_e64 s0, 32, v12
	v_add_f32_e32 v3, v9, v10
	v_sub_f32_e32 v9, v10, v9
	v_add_f32_e32 v14, v5, v7
	v_add_f32_e32 v13, v6, v8
	v_cndmask_b32_e64 v12, v11, v12, s0
	v_add_f32_e32 v15, v2, v4
	v_sub_f32_e32 v2, v4, v2
	v_add_f32_e32 v10, v14, v3
	v_sub_f32_e32 v6, v8, v6
	v_lshlrev_b32_e32 v12, 2, v12
	v_add_f32_e32 v16, v15, v13
	v_sub_f32_e32 v5, v7, v5
	v_and_b32_e32 v8, 1, v0
	v_xor_b32_e32 v20, 2, v11
	ds_bpermute_b32 v4, v12, v10
	ds_bpermute_b32 v7, v12, v16
	v_add_f32_e32 v17, v5, v9
	v_add_f32_e32 v18, v2, v6
	v_sub_f32_e32 v3, v3, v14
	v_cmp_eq_u32_e64 s0, 0, v8
	v_cmp_gt_i32_e64 s1, 32, v20
	v_sub_f32_e32 v13, v13, v15
	ds_bpermute_b32 v8, v12, v17
	ds_bpermute_b32 v14, v12, v18
	;; [unrolled: 1-line block ×3, first 2 shown]
	v_sub_f32_e32 v5, v9, v5
	v_cndmask_b32_e64 v9, -v10, v10, s0
	v_sub_f32_e32 v2, v6, v2
	v_cndmask_b32_e64 v6, v11, v20, s1
	ds_bpermute_b32 v19, v12, v13
	v_cndmask_b32_e64 v10, -v16, v16, s0
	v_cndmask_b32_e64 v3, -v3, v3, s0
	;; [unrolled: 1-line block ×3, first 2 shown]
	v_lshlrev_b32_e32 v16, 2, v6
	s_waitcnt lgkmcnt(5)
	v_add_f32_e32 v4, v9, v4
	v_cndmask_b32_e64 v9, -v17, v17, s0
	ds_bpermute_b32 v6, v12, v5
	ds_bpermute_b32 v17, v12, v2
	s_waitcnt lgkmcnt(6)
	v_add_f32_e32 v7, v10, v7
	v_cndmask_b32_e64 v10, -v18, v18, s0
	ds_bpermute_b32 v18, v16, v4
	v_cndmask_b32_e64 v5, -v5, v5, s0
	s_waitcnt lgkmcnt(6)
	v_add_f32_e32 v8, v9, v8
	v_cndmask_b32_e64 v2, -v2, v2, s0
	s_waitcnt lgkmcnt(5)
	v_add_f32_e32 v9, v10, v14
	s_waitcnt lgkmcnt(4)
	v_add_f32_e32 v3, v3, v15
	ds_bpermute_b32 v14, v16, v7
	ds_bpermute_b32 v15, v16, v8
	v_xor_b32_e32 v22, 4, v11
	s_waitcnt lgkmcnt(5)
	v_add_f32_e32 v10, v13, v19
	v_and_b32_e32 v13, 2, v0
	ds_bpermute_b32 v19, v16, v9
	ds_bpermute_b32 v20, v16, v3
	v_cmp_gt_i32_e64 s2, 32, v22
	ds_bpermute_b32 v21, v16, v10
	v_cmp_eq_u32_e64 s1, 0, v13
	s_waitcnt lgkmcnt(7)
	v_add_f32_e32 v5, v5, v6
	s_waitcnt lgkmcnt(6)
	v_add_f32_e32 v2, v2, v17
	v_cndmask_b32_e64 v6, v11, v22, s2
	v_xor_b32_e32 v22, 8, v11
	v_cndmask_b32_e64 v4, -v4, v4, s1
	ds_bpermute_b32 v13, v16, v5
	ds_bpermute_b32 v17, v16, v2
	v_cndmask_b32_e64 v7, -v7, v7, s1
	v_cndmask_b32_e64 v8, -v8, v8, s1
	s_waitcnt lgkmcnt(7)
	v_add_f32_e32 v4, v4, v18
	v_cndmask_b32_e64 v9, -v9, v9, s1
	v_lshlrev_b32_e32 v6, 2, v6
	v_cndmask_b32_e64 v3, -v3, v3, s1
	s_waitcnt lgkmcnt(6)
	v_add_f32_e32 v7, v7, v14
	v_cndmask_b32_e64 v10, -v10, v10, s1
	s_waitcnt lgkmcnt(5)
	v_add_f32_e32 v8, v8, v15
	ds_bpermute_b32 v18, v6, v4
	s_waitcnt lgkmcnt(5)
	v_add_f32_e32 v9, v9, v19
	s_waitcnt lgkmcnt(4)
	v_add_f32_e32 v3, v3, v20
	v_cndmask_b32_e64 v5, -v5, v5, s1
	v_cndmask_b32_e64 v2, -v2, v2, s1
	ds_bpermute_b32 v15, v6, v7
	s_waitcnt lgkmcnt(4)
	v_add_f32_e32 v10, v10, v21
	v_and_b32_e32 v14, 4, v0
	ds_bpermute_b32 v19, v6, v8
	ds_bpermute_b32 v20, v6, v9
	;; [unrolled: 1-line block ×3, first 2 shown]
	s_waitcnt lgkmcnt(6)
	v_add_f32_e32 v5, v5, v13
	s_waitcnt lgkmcnt(5)
	v_add_f32_e32 v2, v2, v17
	v_cmp_eq_u32_e64 s2, 0, v14
	v_cmp_gt_i32_e64 s3, 32, v22
	ds_bpermute_b32 v14, v6, v10
	ds_bpermute_b32 v17, v6, v5
	;; [unrolled: 1-line block ×3, first 2 shown]
	v_cndmask_b32_e64 v4, -v4, v4, s2
	v_cndmask_b32_e64 v13, v11, v22, s3
	v_cndmask_b32_e64 v7, -v7, v7, s2
	v_cndmask_b32_e64 v8, -v8, v8, s2
	;; [unrolled: 1-line block ×3, first 2 shown]
	s_waitcnt lgkmcnt(7)
	v_add_f32_e32 v4, v4, v18
	v_lshlrev_b32_e32 v13, 2, v13
	v_cndmask_b32_e64 v3, -v3, v3, s2
	s_waitcnt lgkmcnt(6)
	v_add_f32_e32 v7, v7, v15
	v_and_b32_e32 v15, 8, v0
	s_waitcnt lgkmcnt(5)
	v_add_f32_e32 v8, v8, v19
	ds_bpermute_b32 v18, v13, v4
	s_waitcnt lgkmcnt(5)
	v_add_f32_e32 v9, v9, v20
	s_waitcnt lgkmcnt(4)
	v_add_f32_e32 v3, v3, v21
	v_cndmask_b32_e64 v10, -v10, v10, s2
	v_cndmask_b32_e64 v5, -v5, v5, s2
	;; [unrolled: 1-line block ×3, first 2 shown]
	v_cmp_eq_u32_e64 s2, 0, v15
	ds_bpermute_b32 v19, v13, v7
	ds_bpermute_b32 v20, v13, v8
	;; [unrolled: 1-line block ×4, first 2 shown]
	s_waitcnt lgkmcnt(7)
	v_add_f32_e32 v10, v10, v14
	s_waitcnt lgkmcnt(6)
	v_add_f32_e32 v5, v5, v17
	;; [unrolled: 2-line block ×3, first 2 shown]
	v_cndmask_b32_e64 v6, -v7, v7, s2
	v_xor_b32_e32 v7, 16, v11
	ds_bpermute_b32 v14, v13, v10
	ds_bpermute_b32 v17, v13, v5
	v_cndmask_b32_e64 v4, -v4, v4, s2
	ds_bpermute_b32 v13, v13, v2
	v_cmp_gt_i32_e64 s3, 32, v7
	v_cndmask_b32_e64 v8, -v8, v8, s2
	v_cndmask_b32_e64 v9, -v9, v9, s2
	s_waitcnt lgkmcnt(7)
	v_add_f32_e32 v4, v4, v18
	v_cndmask_b32_e64 v3, -v3, v3, s2
	v_cndmask_b32_e64 v7, v11, v7, s3
	v_cndmask_b32_e64 v10, -v10, v10, s2
	s_waitcnt lgkmcnt(6)
	v_add_f32_e32 v6, v6, v19
	s_waitcnt lgkmcnt(5)
	v_add_f32_e32 v8, v8, v20
	;; [unrolled: 2-line block ×3, first 2 shown]
	v_lshlrev_b32_e32 v7, 2, v7
	s_waitcnt lgkmcnt(3)
	v_add_f32_e32 v3, v3, v21
	v_cndmask_b32_e64 v5, -v5, v5, s2
	v_cndmask_b32_e64 v2, -v2, v2, s2
	v_and_b32_e32 v21, 16, v0
	ds_bpermute_b32 v11, v7, v4
	ds_bpermute_b32 v15, v7, v6
	;; [unrolled: 1-line block ×5, first 2 shown]
	s_waitcnt lgkmcnt(7)
	v_add_f32_e32 v10, v10, v14
	s_waitcnt lgkmcnt(6)
	v_add_f32_e32 v14, v5, v17
	;; [unrolled: 2-line block ×3, first 2 shown]
	v_cmp_eq_u32_e64 s2, 0, v21
	s_waitcnt lgkmcnt(0)
	ds_bpermute_b32 v17, v7, v10
	ds_bpermute_b32 v21, v7, v14
	;; [unrolled: 1-line block ×3, first 2 shown]
	v_cndmask_b32_e64 v2, -v4, v4, s2
	v_cndmask_b32_e64 v4, -v6, v6, s2
	;; [unrolled: 1-line block ×5, first 2 shown]
	v_lshrrev_b32_e32 v8, 2, v0
	v_cndmask_b32_e64 v9, -v10, v10, s2
	v_add_f32_e32 v2, v2, v11
	v_and_b32_e32 v11, 3, v0
	v_add_f32_e32 v3, v4, v15
	v_add_f32_e32 v4, v5, v18
	;; [unrolled: 1-line block ×4, first 2 shown]
	v_lshrrev_b32_e32 v7, 5, v0
	v_cndmask_b32_e64 v10, -v14, v14, s2
	v_lshl_or_b32 v14, v11, 5, v8
	v_cndmask_b32_e64 v13, -v13, v13, s2
	s_barrier
	v_xor_b32_e32 v0, v7, v0
	s_waitcnt lgkmcnt(1)
	v_add_f32_e32 v8, v10, v21
	v_xor_b32_e32 v10, v14, v11
	v_add_f32_e32 v7, v9, v17
	s_waitcnt lgkmcnt(0)
	v_add_f32_e32 v9, v13, v22
	v_lshl_add_u32 v0, v0, 4, 0
	buffer_gl0_inv
	v_lshl_add_u32 v10, v10, 4, 0
	ds_write_b128 v0, v[2:5]
	ds_write_b128 v0, v[6:9] offset:2048
	s_waitcnt lgkmcnt(0)
	s_barrier
	buffer_gl0_inv
	ds_read_b128 v[2:5], v10
	ds_read_b128 v[6:9], v10 offset:2048
	s_waitcnt lgkmcnt(0)
	s_barrier
	buffer_gl0_inv
	ds_bpermute_b32 v11, v12, v2
	ds_bpermute_b32 v13, v12, v3
	;; [unrolled: 1-line block ×8, first 2 shown]
	v_cndmask_b32_e64 v2, -v2, v2, s0
	v_cndmask_b32_e64 v3, -v3, v3, s0
	;; [unrolled: 1-line block ×8, first 2 shown]
	s_waitcnt lgkmcnt(7)
	v_add_f32_e32 v2, v2, v11
	s_waitcnt lgkmcnt(6)
	v_add_f32_e32 v3, v3, v13
	s_waitcnt lgkmcnt(5)
	v_add_f32_e32 v4, v4, v14
	s_waitcnt lgkmcnt(4)
	v_add_f32_e32 v5, v5, v15
	s_waitcnt lgkmcnt(3)
	v_add_f32_e32 v6, v6, v17
	s_waitcnt lgkmcnt(2)
	v_add_f32_e32 v7, v7, v18
	s_waitcnt lgkmcnt(1)
	v_add_f32_e32 v8, v8, v19
	s_waitcnt lgkmcnt(0)
	v_add_f32_e32 v9, v9, v12
	ds_bpermute_b32 v11, v16, v2
	ds_bpermute_b32 v13, v16, v3
	;; [unrolled: 1-line block ×8, first 2 shown]
	v_cndmask_b32_e64 v2, -v2, v2, s1
	v_cndmask_b32_e64 v3, -v3, v3, s1
	;; [unrolled: 1-line block ×8, first 2 shown]
	s_waitcnt lgkmcnt(7)
	v_add_f32_e32 v2, v2, v11
	s_waitcnt lgkmcnt(6)
	v_add_f32_e32 v3, v3, v13
	;; [unrolled: 2-line block ×8, first 2 shown]
	ds_write_b128 v10, v[2:5]
	ds_write_b128 v10, v[6:9] offset:2048
	s_waitcnt lgkmcnt(0)
	s_barrier
	buffer_gl0_inv
	s_and_saveexec_b32 s0, vcc_lo
	s_cbranch_execz .LBB33_4
; %bb.3:
	s_clause 0x1
	s_load_dwordx2 s[0:1], s[4:5], 0x18
	s_load_dword s8, s[4:5], 0x20
	ds_read_b128 v[2:5], v0 offset:2048
	ds_read_b128 v[6:9], v0
	s_load_dwordx2 s[2:3], s[4:5], 0x30
	s_waitcnt lgkmcnt(0)
	s_mul_i32 s4, s0, s7
	v_mul_f32_e32 v0, s8, v5
	v_mul_f32_e32 v4, s8, v4
	;; [unrolled: 1-line block ×5, first 2 shown]
	v_bfe_u32 v9, v0, 16, 1
	v_or_b32_e32 v10, 0x400000, v0
	v_bfe_u32 v11, v4, 16, 1
	v_cmp_u_f32_e32 vcc_lo, v0, v0
	v_or_b32_e32 v12, 0x400000, v4
	v_add3_u32 v9, v9, v0, 0x7fff
	v_bfe_u32 v13, v3, 16, 1
	v_add3_u32 v11, v11, v4, 0x7fff
	v_or_b32_e32 v14, 0x400000, v3
	v_bfe_u32 v15, v2, 16, 1
	v_cndmask_b32_e32 v0, v9, v10, vcc_lo
	v_cmp_u_f32_e32 vcc_lo, v4, v4
	v_add3_u32 v13, v13, v3, 0x7fff
	v_or_b32_e32 v16, 0x400000, v2
	v_bfe_u32 v17, v5, 16, 1
	v_add3_u32 v15, v15, v2, 0x7fff
	v_cndmask_b32_e32 v4, v11, v12, vcc_lo
	v_cmp_u_f32_e32 vcc_lo, v3, v3
	v_mul_f32_e32 v8, s8, v8
	v_mul_f32_e32 v7, s8, v7
	v_add3_u32 v9, v17, v5, 0x7fff
	v_or_b32_e32 v10, 0x400000, v5
	v_cndmask_b32_e32 v3, v13, v14, vcc_lo
	v_cmp_u_f32_e32 vcc_lo, v2, v2
	v_bfe_u32 v11, v8, 16, 1
	v_mul_f32_e32 v6, s8, v6
	v_bfe_u32 v12, v7, 16, 1
	v_or_b32_e32 v13, 0x400000, v7
	v_cndmask_b32_e32 v2, v15, v16, vcc_lo
	v_cmp_u_f32_e32 vcc_lo, v5, v5
	v_bfe_u32 v5, v6, 16, 1
	v_add3_u32 v12, v12, v7, 0x7fff
	v_or_b32_e32 v14, 0x400000, v6
	s_mul_hi_u32 s5, s0, s6
	v_cndmask_b32_e32 v9, v9, v10, vcc_lo
	v_add3_u32 v10, v11, v8, 0x7fff
	v_or_b32_e32 v11, 0x400000, v8
	v_cmp_u_f32_e32 vcc_lo, v8, v8
	v_add3_u32 v5, v5, v6, 0x7fff
	s_mul_i32 s1, s1, s6
	s_add_i32 s4, s5, s4
	s_mul_i32 s0, s0, s6
	v_cndmask_b32_e32 v8, v10, v11, vcc_lo
	v_cmp_u_f32_e32 vcc_lo, v7, v7
	s_add_i32 s1, s4, s1
	s_lshl_b64 s[0:1], s[0:1], 1
	v_cndmask_b32_e32 v7, v12, v13, vcc_lo
	v_cmp_u_f32_e32 vcc_lo, v6, v6
	s_add_u32 s0, s2, s0
	s_addc_u32 s1, s3, s1
	v_cndmask_b32_e32 v6, v5, v14, vcc_lo
	v_perm_b32 v5, v0, v4, 0x7060302
	v_perm_b32 v4, v3, v2, 0x7060302
	;; [unrolled: 1-line block ×4, first 2 shown]
	global_store_dwordx4 v1, v[2:5], s[0:1]
.LBB33_4:
	s_endpgm
	.section	.rodata,"a",@progbits
	.p2align	6, 0x0
	.amdhsa_kernel _Z30fast_hadamard_transform_kernelI37fast_hadamard_transform_kernel_traitsILi128ELi10E14__hip_bfloat16EEv18HadamardParamsBase
		.amdhsa_group_segment_fixed_size 0
		.amdhsa_private_segment_fixed_size 0
		.amdhsa_kernarg_size 56
		.amdhsa_user_sgpr_count 6
		.amdhsa_user_sgpr_private_segment_buffer 1
		.amdhsa_user_sgpr_dispatch_ptr 0
		.amdhsa_user_sgpr_queue_ptr 0
		.amdhsa_user_sgpr_kernarg_segment_ptr 1
		.amdhsa_user_sgpr_dispatch_id 0
		.amdhsa_user_sgpr_flat_scratch_init 0
		.amdhsa_user_sgpr_private_segment_size 0
		.amdhsa_wavefront_size32 1
		.amdhsa_uses_dynamic_stack 0
		.amdhsa_system_sgpr_private_segment_wavefront_offset 0
		.amdhsa_system_sgpr_workgroup_id_x 1
		.amdhsa_system_sgpr_workgroup_id_y 0
		.amdhsa_system_sgpr_workgroup_id_z 0
		.amdhsa_system_sgpr_workgroup_info 0
		.amdhsa_system_vgpr_workitem_id 0
		.amdhsa_next_free_vgpr 23
		.amdhsa_next_free_sgpr 11
		.amdhsa_reserve_vcc 1
		.amdhsa_reserve_flat_scratch 0
		.amdhsa_float_round_mode_32 0
		.amdhsa_float_round_mode_16_64 0
		.amdhsa_float_denorm_mode_32 3
		.amdhsa_float_denorm_mode_16_64 3
		.amdhsa_dx10_clamp 1
		.amdhsa_ieee_mode 1
		.amdhsa_fp16_overflow 0
		.amdhsa_workgroup_processor_mode 1
		.amdhsa_memory_ordered 1
		.amdhsa_forward_progress 1
		.amdhsa_shared_vgpr_count 0
		.amdhsa_exception_fp_ieee_invalid_op 0
		.amdhsa_exception_fp_denorm_src 0
		.amdhsa_exception_fp_ieee_div_zero 0
		.amdhsa_exception_fp_ieee_overflow 0
		.amdhsa_exception_fp_ieee_underflow 0
		.amdhsa_exception_fp_ieee_inexact 0
		.amdhsa_exception_int_div_zero 0
	.end_amdhsa_kernel
	.section	.text._Z30fast_hadamard_transform_kernelI37fast_hadamard_transform_kernel_traitsILi128ELi10E14__hip_bfloat16EEv18HadamardParamsBase,"axG",@progbits,_Z30fast_hadamard_transform_kernelI37fast_hadamard_transform_kernel_traitsILi128ELi10E14__hip_bfloat16EEv18HadamardParamsBase,comdat
.Lfunc_end33:
	.size	_Z30fast_hadamard_transform_kernelI37fast_hadamard_transform_kernel_traitsILi128ELi10E14__hip_bfloat16EEv18HadamardParamsBase, .Lfunc_end33-_Z30fast_hadamard_transform_kernelI37fast_hadamard_transform_kernel_traitsILi128ELi10E14__hip_bfloat16EEv18HadamardParamsBase
                                        ; -- End function
	.set _Z30fast_hadamard_transform_kernelI37fast_hadamard_transform_kernel_traitsILi128ELi10E14__hip_bfloat16EEv18HadamardParamsBase.num_vgpr, 23
	.set _Z30fast_hadamard_transform_kernelI37fast_hadamard_transform_kernel_traitsILi128ELi10E14__hip_bfloat16EEv18HadamardParamsBase.num_agpr, 0
	.set _Z30fast_hadamard_transform_kernelI37fast_hadamard_transform_kernel_traitsILi128ELi10E14__hip_bfloat16EEv18HadamardParamsBase.numbered_sgpr, 11
	.set _Z30fast_hadamard_transform_kernelI37fast_hadamard_transform_kernel_traitsILi128ELi10E14__hip_bfloat16EEv18HadamardParamsBase.num_named_barrier, 0
	.set _Z30fast_hadamard_transform_kernelI37fast_hadamard_transform_kernel_traitsILi128ELi10E14__hip_bfloat16EEv18HadamardParamsBase.private_seg_size, 0
	.set _Z30fast_hadamard_transform_kernelI37fast_hadamard_transform_kernel_traitsILi128ELi10E14__hip_bfloat16EEv18HadamardParamsBase.uses_vcc, 1
	.set _Z30fast_hadamard_transform_kernelI37fast_hadamard_transform_kernel_traitsILi128ELi10E14__hip_bfloat16EEv18HadamardParamsBase.uses_flat_scratch, 0
	.set _Z30fast_hadamard_transform_kernelI37fast_hadamard_transform_kernel_traitsILi128ELi10E14__hip_bfloat16EEv18HadamardParamsBase.has_dyn_sized_stack, 0
	.set _Z30fast_hadamard_transform_kernelI37fast_hadamard_transform_kernel_traitsILi128ELi10E14__hip_bfloat16EEv18HadamardParamsBase.has_recursion, 0
	.set _Z30fast_hadamard_transform_kernelI37fast_hadamard_transform_kernel_traitsILi128ELi10E14__hip_bfloat16EEv18HadamardParamsBase.has_indirect_call, 0
	.section	.AMDGPU.csdata,"",@progbits
; Kernel info:
; codeLenInByte = 2424
; TotalNumSgprs: 13
; NumVgprs: 23
; ScratchSize: 0
; MemoryBound: 0
; FloatMode: 240
; IeeeMode: 1
; LDSByteSize: 0 bytes/workgroup (compile time only)
; SGPRBlocks: 0
; VGPRBlocks: 2
; NumSGPRsForWavesPerEU: 13
; NumVGPRsForWavesPerEU: 23
; Occupancy: 16
; WaveLimiterHint : 0
; COMPUTE_PGM_RSRC2:SCRATCH_EN: 0
; COMPUTE_PGM_RSRC2:USER_SGPR: 6
; COMPUTE_PGM_RSRC2:TRAP_HANDLER: 0
; COMPUTE_PGM_RSRC2:TGID_X_EN: 1
; COMPUTE_PGM_RSRC2:TGID_Y_EN: 0
; COMPUTE_PGM_RSRC2:TGID_Z_EN: 0
; COMPUTE_PGM_RSRC2:TIDIG_COMP_CNT: 0
	.section	.text._Z30fast_hadamard_transform_kernelI37fast_hadamard_transform_kernel_traitsILi256ELi11E14__hip_bfloat16EEv18HadamardParamsBase,"axG",@progbits,_Z30fast_hadamard_transform_kernelI37fast_hadamard_transform_kernel_traitsILi256ELi11E14__hip_bfloat16EEv18HadamardParamsBase,comdat
	.protected	_Z30fast_hadamard_transform_kernelI37fast_hadamard_transform_kernel_traitsILi256ELi11E14__hip_bfloat16EEv18HadamardParamsBase ; -- Begin function _Z30fast_hadamard_transform_kernelI37fast_hadamard_transform_kernel_traitsILi256ELi11E14__hip_bfloat16EEv18HadamardParamsBase
	.globl	_Z30fast_hadamard_transform_kernelI37fast_hadamard_transform_kernel_traitsILi256ELi11E14__hip_bfloat16EEv18HadamardParamsBase
	.p2align	8
	.type	_Z30fast_hadamard_transform_kernelI37fast_hadamard_transform_kernel_traitsILi256ELi11E14__hip_bfloat16EEv18HadamardParamsBase,@function
_Z30fast_hadamard_transform_kernelI37fast_hadamard_transform_kernel_traitsILi256ELi11E14__hip_bfloat16EEv18HadamardParamsBase: ; @_Z30fast_hadamard_transform_kernelI37fast_hadamard_transform_kernel_traitsILi256ELi11E14__hip_bfloat16EEv18HadamardParamsBase
; %bb.0:
	s_load_dword s0, s[4:5], 0x4
	v_lshlrev_b32_e32 v9, 3, v0
	v_mov_b32_e32 v2, 0
	v_mov_b32_e32 v3, 0
	;; [unrolled: 1-line block ×7, first 2 shown]
	v_lshlrev_b32_e32 v1, 4, v0
	s_ashr_i32 s8, s6, 31
	s_waitcnt lgkmcnt(0)
	v_cmp_gt_u32_e32 vcc_lo, s0, v9
	v_mov_b32_e32 v9, 0
	s_and_saveexec_b32 s0, vcc_lo
	s_cbranch_execz .LBB34_2
; %bb.1:
	s_clause 0x1
	s_load_dwordx2 s[2:3], s[4:5], 0x10
	s_load_dwordx2 s[10:11], s[4:5], 0x28
	s_waitcnt lgkmcnt(0)
	s_mul_i32 s1, s2, s8
	s_mul_hi_u32 s7, s2, s6
	s_mul_i32 s3, s3, s6
	s_add_i32 s1, s7, s1
	s_mul_i32 s2, s2, s6
	s_add_i32 s3, s1, s3
	s_lshl_b64 s[2:3], s[2:3], 1
	s_add_u32 s2, s10, s2
	s_addc_u32 s3, s11, s3
	global_load_dwordx4 v[10:13], v1, s[2:3]
	s_waitcnt vmcnt(0)
	v_lshlrev_b32_e32 v9, 16, v10
	v_and_b32_e32 v8, 0xffff0000, v10
	v_lshlrev_b32_e32 v7, 16, v11
	v_and_b32_e32 v6, 0xffff0000, v11
	;; [unrolled: 2-line block ×4, first 2 shown]
.LBB34_2:
	s_or_b32 exec_lo, exec_lo, s0
	v_mbcnt_lo_u32_b32 v11, -1, 0
	v_add_f32_e32 v10, v8, v9
	v_sub_f32_e32 v8, v9, v8
	v_add_f32_e32 v9, v6, v7
	v_sub_f32_e32 v6, v7, v6
	v_xor_b32_e32 v12, 1, v11
	v_add_f32_e32 v7, v4, v5
	v_sub_f32_e32 v4, v5, v4
	v_add_f32_e32 v5, v2, v3
	v_sub_f32_e32 v2, v3, v2
	v_cmp_gt_i32_e64 s0, 32, v12
	v_add_f32_e32 v3, v9, v10
	v_add_f32_e32 v13, v6, v8
	;; [unrolled: 1-line block ×4, first 2 shown]
	v_cndmask_b32_e64 v12, v11, v12, s0
	v_sub_f32_e32 v9, v10, v9
	v_sub_f32_e32 v6, v8, v6
	v_add_f32_e32 v10, v14, v3
	v_add_f32_e32 v16, v15, v13
	v_lshlrev_b32_e32 v12, 2, v12
	v_sub_f32_e32 v5, v7, v5
	v_sub_f32_e32 v2, v4, v2
	v_xor_b32_e32 v20, 2, v11
	v_and_b32_e32 v8, 1, v0
	ds_bpermute_b32 v4, v12, v10
	ds_bpermute_b32 v7, v12, v16
	v_add_f32_e32 v17, v5, v9
	v_add_f32_e32 v18, v2, v6
	v_sub_f32_e32 v3, v3, v14
	v_sub_f32_e32 v13, v13, v15
	v_cmp_gt_i32_e64 s1, 32, v20
	v_cmp_eq_u32_e64 s0, 0, v8
	ds_bpermute_b32 v8, v12, v17
	ds_bpermute_b32 v14, v12, v18
	;; [unrolled: 1-line block ×4, first 2 shown]
	v_sub_f32_e32 v5, v9, v5
	v_sub_f32_e32 v2, v6, v2
	v_cndmask_b32_e64 v6, v11, v20, s1
	v_cndmask_b32_e64 v9, -v10, v10, s0
	v_cndmask_b32_e64 v10, -v16, v16, s0
	;; [unrolled: 1-line block ×4, first 2 shown]
	v_lshlrev_b32_e32 v16, 2, v6
	ds_bpermute_b32 v6, v12, v5
	s_waitcnt lgkmcnt(6)
	v_add_f32_e32 v4, v9, v4
	v_cndmask_b32_e64 v9, -v17, v17, s0
	ds_bpermute_b32 v17, v12, v2
	s_waitcnt lgkmcnt(6)
	v_add_f32_e32 v7, v10, v7
	v_cndmask_b32_e64 v10, -v18, v18, s0
	ds_bpermute_b32 v18, v16, v4
	v_xor_b32_e32 v22, 4, v11
	s_waitcnt lgkmcnt(6)
	v_add_f32_e32 v8, v9, v8
	v_cndmask_b32_e64 v5, -v5, v5, s0
	s_waitcnt lgkmcnt(5)
	v_add_f32_e32 v9, v10, v14
	s_waitcnt lgkmcnt(4)
	v_add_f32_e32 v3, v3, v15
	;; [unrolled: 2-line block ×3, first 2 shown]
	v_and_b32_e32 v13, 2, v0
	v_cmp_gt_i32_e64 s2, 32, v22
	v_cndmask_b32_e64 v2, -v2, v2, s0
	ds_bpermute_b32 v14, v16, v7
	ds_bpermute_b32 v15, v16, v8
	;; [unrolled: 1-line block ×4, first 2 shown]
	v_cmp_eq_u32_e64 s1, 0, v13
	s_waitcnt lgkmcnt(6)
	v_add_f32_e32 v5, v5, v6
	v_cndmask_b32_e64 v6, v11, v22, s2
	ds_bpermute_b32 v21, v16, v10
	s_waitcnt lgkmcnt(6)
	v_add_f32_e32 v2, v2, v17
	v_cndmask_b32_e64 v4, -v4, v4, s1
	v_cndmask_b32_e64 v7, -v7, v7, s1
	v_lshlrev_b32_e32 v13, 2, v6
	ds_bpermute_b32 v6, v16, v5
	ds_bpermute_b32 v17, v16, v2
	s_waitcnt lgkmcnt(7)
	v_add_f32_e32 v4, v4, v18
	v_cndmask_b32_e64 v8, -v8, v8, s1
	v_cndmask_b32_e64 v9, -v9, v9, s1
	v_cndmask_b32_e64 v3, -v3, v3, s1
	v_cndmask_b32_e64 v10, -v10, v10, s1
	ds_bpermute_b32 v18, v13, v4
	s_waitcnt lgkmcnt(7)
	v_add_f32_e32 v7, v7, v14
	s_waitcnt lgkmcnt(6)
	v_add_f32_e32 v8, v8, v15
	;; [unrolled: 2-line block ×4, first 2 shown]
	v_cndmask_b32_e64 v5, -v5, v5, s1
	v_and_b32_e32 v14, 4, v0
	v_cndmask_b32_e64 v2, -v2, v2, s1
	s_waitcnt lgkmcnt(3)
	v_add_f32_e32 v10, v10, v21
	ds_bpermute_b32 v15, v13, v7
	ds_bpermute_b32 v19, v13, v8
	;; [unrolled: 1-line block ×4, first 2 shown]
	v_xor_b32_e32 v22, 8, v11
	v_cmp_eq_u32_e64 s2, 0, v14
	s_waitcnt lgkmcnt(6)
	v_add_f32_e32 v5, v5, v6
	s_waitcnt lgkmcnt(5)
	v_add_f32_e32 v2, v2, v17
	ds_bpermute_b32 v14, v13, v10
	v_cmp_gt_i32_e64 s3, 32, v22
	v_cndmask_b32_e64 v4, -v4, v4, s2
	ds_bpermute_b32 v17, v13, v5
	v_cndmask_b32_e64 v7, -v7, v7, s2
	v_cndmask_b32_e64 v8, -v8, v8, s2
	v_cndmask_b32_e64 v6, v11, v22, s3
	s_waitcnt lgkmcnt(6)
	v_add_f32_e32 v4, v4, v18
	ds_bpermute_b32 v18, v13, v2
	v_cndmask_b32_e64 v9, -v9, v9, s2
	v_cndmask_b32_e64 v3, -v3, v3, s2
	v_lshlrev_b32_e32 v6, 2, v6
	s_waitcnt lgkmcnt(6)
	v_add_f32_e32 v7, v7, v15
	s_waitcnt lgkmcnt(5)
	v_add_f32_e32 v8, v8, v19
	;; [unrolled: 2-line block ×4, first 2 shown]
	ds_bpermute_b32 v22, v6, v4
	v_cndmask_b32_e64 v10, -v10, v10, s2
	v_and_b32_e32 v15, 8, v0
	v_cndmask_b32_e64 v5, -v5, v5, s2
	v_cndmask_b32_e64 v2, -v2, v2, s2
	ds_bpermute_b32 v19, v6, v7
	ds_bpermute_b32 v20, v6, v8
	v_cmp_eq_u32_e64 s3, 0, v15
	ds_bpermute_b32 v15, v6, v9
	ds_bpermute_b32 v21, v6, v3
	s_waitcnt lgkmcnt(7)
	v_add_f32_e32 v10, v10, v14
	s_waitcnt lgkmcnt(6)
	v_add_f32_e32 v5, v5, v17
	v_xor_b32_e32 v14, 16, v11
	s_waitcnt lgkmcnt(5)
	v_add_f32_e32 v2, v2, v18
	v_cndmask_b32_e64 v4, -v4, v4, s3
	ds_bpermute_b32 v17, v6, v10
	ds_bpermute_b32 v18, v6, v5
	v_cmp_gt_i32_e64 s7, 32, v14
	ds_bpermute_b32 v6, v6, v2
	v_cndmask_b32_e64 v7, -v7, v7, s3
	s_waitcnt lgkmcnt(7)
	v_add_f32_e32 v4, v4, v22
	v_cndmask_b32_e64 v8, -v8, v8, s3
	v_cndmask_b32_e64 v11, v11, v14, s7
	v_cndmask_b32_e64 v9, -v9, v9, s3
	v_cndmask_b32_e64 v3, -v3, v3, s3
	s_waitcnt lgkmcnt(6)
	v_add_f32_e32 v7, v7, v19
	s_waitcnt lgkmcnt(5)
	v_add_f32_e32 v8, v8, v20
	v_lshlrev_b32_e32 v11, 2, v11
	s_waitcnt lgkmcnt(4)
	v_add_f32_e32 v9, v9, v15
	s_waitcnt lgkmcnt(3)
	v_add_f32_e32 v3, v3, v21
	v_cndmask_b32_e64 v10, -v10, v10, s3
	v_cndmask_b32_e64 v5, -v5, v5, s3
	ds_bpermute_b32 v14, v11, v4
	ds_bpermute_b32 v15, v11, v7
	;; [unrolled: 1-line block ×5, first 2 shown]
	v_cndmask_b32_e64 v2, -v2, v2, s3
	v_and_b32_e32 v22, 16, v0
	s_waitcnt lgkmcnt(7)
	v_add_f32_e32 v10, v10, v17
	s_waitcnt lgkmcnt(6)
	v_add_f32_e32 v17, v5, v18
	;; [unrolled: 2-line block ×3, first 2 shown]
	v_cmp_eq_u32_e64 s3, 0, v22
	ds_bpermute_b32 v22, v11, v10
	ds_bpermute_b32 v23, v11, v17
	s_barrier
	ds_bpermute_b32 v11, v11, v18
	v_cndmask_b32_e64 v2, -v4, v4, s3
	v_cndmask_b32_e64 v4, -v7, v7, s3
	v_cndmask_b32_e64 v5, -v8, v8, s3
	v_cndmask_b32_e64 v6, -v9, v9, s3
	v_cndmask_b32_e64 v7, -v3, v3, s3
	v_add_f32_e32 v2, v2, v14
	v_and_b32_e32 v14, 7, v0
	v_lshrrev_b32_e32 v8, 3, v0
	v_add_f32_e32 v3, v4, v15
	v_add_f32_e32 v4, v5, v19
	;; [unrolled: 1-line block ×4, first 2 shown]
	v_lshrrev_b32_e32 v7, 5, v0
	v_cndmask_b32_e64 v9, -v10, v10, s3
	v_cndmask_b32_e64 v10, -v17, v17, s3
	v_lshl_or_b32 v17, v14, 5, v8
	v_cndmask_b32_e64 v15, -v18, v18, s3
	v_xor_b32_e32 v0, v7, v0
	s_waitcnt lgkmcnt(2)
	v_add_f32_e32 v7, v9, v22
	s_waitcnt lgkmcnt(1)
	v_add_f32_e32 v8, v10, v23
	v_xor_b32_e32 v10, v17, v14
	s_waitcnt lgkmcnt(0)
	v_add_f32_e32 v9, v15, v11
	v_lshl_add_u32 v0, v0, 4, 0
	buffer_gl0_inv
	v_lshl_add_u32 v10, v10, 4, 0
	ds_write_b128 v0, v[2:5]
	ds_write_b128 v0, v[6:9] offset:4096
	s_waitcnt lgkmcnt(0)
	s_barrier
	buffer_gl0_inv
	ds_read_b128 v[2:5], v10
	ds_read_b128 v[6:9], v10 offset:4096
	s_waitcnt lgkmcnt(0)
	s_barrier
	buffer_gl0_inv
	ds_bpermute_b32 v11, v12, v2
	ds_bpermute_b32 v14, v12, v3
	ds_bpermute_b32 v15, v12, v4
	ds_bpermute_b32 v17, v12, v5
	ds_bpermute_b32 v18, v12, v6
	ds_bpermute_b32 v19, v12, v7
	ds_bpermute_b32 v20, v12, v8
	ds_bpermute_b32 v12, v12, v9
	v_cndmask_b32_e64 v2, -v2, v2, s0
	v_cndmask_b32_e64 v3, -v3, v3, s0
	v_cndmask_b32_e64 v4, -v4, v4, s0
	v_cndmask_b32_e64 v5, -v5, v5, s0
	v_cndmask_b32_e64 v6, -v6, v6, s0
	v_cndmask_b32_e64 v7, -v7, v7, s0
	v_cndmask_b32_e64 v8, -v8, v8, s0
	v_cndmask_b32_e64 v9, -v9, v9, s0
	s_waitcnt lgkmcnt(7)
	v_add_f32_e32 v2, v2, v11
	s_waitcnt lgkmcnt(6)
	v_add_f32_e32 v3, v3, v14
	s_waitcnt lgkmcnt(5)
	v_add_f32_e32 v4, v4, v15
	s_waitcnt lgkmcnt(4)
	v_add_f32_e32 v5, v5, v17
	s_waitcnt lgkmcnt(3)
	v_add_f32_e32 v6, v6, v18
	s_waitcnt lgkmcnt(2)
	v_add_f32_e32 v7, v7, v19
	s_waitcnt lgkmcnt(1)
	v_add_f32_e32 v8, v8, v20
	s_waitcnt lgkmcnt(0)
	v_add_f32_e32 v9, v9, v12
	ds_bpermute_b32 v11, v16, v2
	ds_bpermute_b32 v14, v16, v3
	ds_bpermute_b32 v15, v16, v4
	ds_bpermute_b32 v12, v16, v5
	ds_bpermute_b32 v17, v16, v6
	ds_bpermute_b32 v18, v16, v7
	ds_bpermute_b32 v19, v16, v8
	ds_bpermute_b32 v16, v16, v9
	v_cndmask_b32_e64 v2, -v2, v2, s1
	v_cndmask_b32_e64 v3, -v3, v3, s1
	v_cndmask_b32_e64 v4, -v4, v4, s1
	v_cndmask_b32_e64 v5, -v5, v5, s1
	v_cndmask_b32_e64 v6, -v6, v6, s1
	v_cndmask_b32_e64 v7, -v7, v7, s1
	v_cndmask_b32_e64 v8, -v8, v8, s1
	v_cndmask_b32_e64 v9, -v9, v9, s1
	s_waitcnt lgkmcnt(7)
	v_add_f32_e32 v2, v2, v11
	s_waitcnt lgkmcnt(6)
	v_add_f32_e32 v3, v3, v14
	s_waitcnt lgkmcnt(5)
	v_add_f32_e32 v4, v4, v15
	s_waitcnt lgkmcnt(4)
	v_add_f32_e32 v5, v5, v12
	s_waitcnt lgkmcnt(3)
	v_add_f32_e32 v6, v6, v17
	s_waitcnt lgkmcnt(2)
	v_add_f32_e32 v7, v7, v18
	s_waitcnt lgkmcnt(1)
	v_add_f32_e32 v8, v8, v19
	s_waitcnt lgkmcnt(0)
	v_add_f32_e32 v9, v9, v16
	;; [unrolled: 32-line block ×3, first 2 shown]
	ds_write_b128 v10, v[2:5]
	ds_write_b128 v10, v[6:9] offset:4096
	s_waitcnt lgkmcnt(0)
	s_barrier
	buffer_gl0_inv
	s_and_saveexec_b32 s0, vcc_lo
	s_cbranch_execz .LBB34_4
; %bb.3:
	s_clause 0x1
	s_load_dwordx2 s[0:1], s[4:5], 0x18
	s_load_dword s7, s[4:5], 0x20
	ds_read_b128 v[2:5], v0 offset:4096
	ds_read_b128 v[6:9], v0
	s_load_dwordx2 s[2:3], s[4:5], 0x30
	s_waitcnt lgkmcnt(0)
	s_mul_i32 s4, s0, s8
	v_mul_f32_e32 v0, s7, v5
	v_mul_f32_e32 v4, s7, v4
	;; [unrolled: 1-line block ×5, first 2 shown]
	v_bfe_u32 v9, v0, 16, 1
	v_or_b32_e32 v10, 0x400000, v0
	v_bfe_u32 v11, v4, 16, 1
	v_cmp_u_f32_e32 vcc_lo, v0, v0
	v_or_b32_e32 v12, 0x400000, v4
	v_add3_u32 v9, v9, v0, 0x7fff
	v_bfe_u32 v13, v3, 16, 1
	v_add3_u32 v11, v11, v4, 0x7fff
	v_or_b32_e32 v14, 0x400000, v3
	v_bfe_u32 v15, v2, 16, 1
	v_cndmask_b32_e32 v0, v9, v10, vcc_lo
	v_cmp_u_f32_e32 vcc_lo, v4, v4
	v_add3_u32 v13, v13, v3, 0x7fff
	v_or_b32_e32 v16, 0x400000, v2
	v_bfe_u32 v17, v5, 16, 1
	v_add3_u32 v15, v15, v2, 0x7fff
	v_cndmask_b32_e32 v4, v11, v12, vcc_lo
	v_cmp_u_f32_e32 vcc_lo, v3, v3
	v_mul_f32_e32 v8, s7, v8
	v_mul_f32_e32 v7, s7, v7
	v_add3_u32 v9, v17, v5, 0x7fff
	v_or_b32_e32 v10, 0x400000, v5
	v_cndmask_b32_e32 v3, v13, v14, vcc_lo
	v_cmp_u_f32_e32 vcc_lo, v2, v2
	v_bfe_u32 v11, v8, 16, 1
	v_mul_f32_e32 v6, s7, v6
	v_bfe_u32 v12, v7, 16, 1
	v_or_b32_e32 v13, 0x400000, v7
	v_cndmask_b32_e32 v2, v15, v16, vcc_lo
	v_cmp_u_f32_e32 vcc_lo, v5, v5
	v_bfe_u32 v5, v6, 16, 1
	v_add3_u32 v12, v12, v7, 0x7fff
	v_or_b32_e32 v14, 0x400000, v6
	s_mul_hi_u32 s5, s0, s6
	v_cndmask_b32_e32 v9, v9, v10, vcc_lo
	v_add3_u32 v10, v11, v8, 0x7fff
	v_or_b32_e32 v11, 0x400000, v8
	v_cmp_u_f32_e32 vcc_lo, v8, v8
	v_add3_u32 v5, v5, v6, 0x7fff
	s_mul_i32 s1, s1, s6
	s_add_i32 s4, s5, s4
	s_mul_i32 s0, s0, s6
	v_cndmask_b32_e32 v8, v10, v11, vcc_lo
	v_cmp_u_f32_e32 vcc_lo, v7, v7
	s_add_i32 s1, s4, s1
	s_lshl_b64 s[0:1], s[0:1], 1
	v_cndmask_b32_e32 v7, v12, v13, vcc_lo
	v_cmp_u_f32_e32 vcc_lo, v6, v6
	s_add_u32 s0, s2, s0
	s_addc_u32 s1, s3, s1
	v_cndmask_b32_e32 v6, v5, v14, vcc_lo
	v_perm_b32 v5, v0, v4, 0x7060302
	v_perm_b32 v4, v3, v2, 0x7060302
	;; [unrolled: 1-line block ×4, first 2 shown]
	global_store_dwordx4 v1, v[2:5], s[0:1]
.LBB34_4:
	s_endpgm
	.section	.rodata,"a",@progbits
	.p2align	6, 0x0
	.amdhsa_kernel _Z30fast_hadamard_transform_kernelI37fast_hadamard_transform_kernel_traitsILi256ELi11E14__hip_bfloat16EEv18HadamardParamsBase
		.amdhsa_group_segment_fixed_size 0
		.amdhsa_private_segment_fixed_size 0
		.amdhsa_kernarg_size 56
		.amdhsa_user_sgpr_count 6
		.amdhsa_user_sgpr_private_segment_buffer 1
		.amdhsa_user_sgpr_dispatch_ptr 0
		.amdhsa_user_sgpr_queue_ptr 0
		.amdhsa_user_sgpr_kernarg_segment_ptr 1
		.amdhsa_user_sgpr_dispatch_id 0
		.amdhsa_user_sgpr_flat_scratch_init 0
		.amdhsa_user_sgpr_private_segment_size 0
		.amdhsa_wavefront_size32 1
		.amdhsa_uses_dynamic_stack 0
		.amdhsa_system_sgpr_private_segment_wavefront_offset 0
		.amdhsa_system_sgpr_workgroup_id_x 1
		.amdhsa_system_sgpr_workgroup_id_y 0
		.amdhsa_system_sgpr_workgroup_id_z 0
		.amdhsa_system_sgpr_workgroup_info 0
		.amdhsa_system_vgpr_workitem_id 0
		.amdhsa_next_free_vgpr 24
		.amdhsa_next_free_sgpr 12
		.amdhsa_reserve_vcc 1
		.amdhsa_reserve_flat_scratch 0
		.amdhsa_float_round_mode_32 0
		.amdhsa_float_round_mode_16_64 0
		.amdhsa_float_denorm_mode_32 3
		.amdhsa_float_denorm_mode_16_64 3
		.amdhsa_dx10_clamp 1
		.amdhsa_ieee_mode 1
		.amdhsa_fp16_overflow 0
		.amdhsa_workgroup_processor_mode 1
		.amdhsa_memory_ordered 1
		.amdhsa_forward_progress 1
		.amdhsa_shared_vgpr_count 0
		.amdhsa_exception_fp_ieee_invalid_op 0
		.amdhsa_exception_fp_denorm_src 0
		.amdhsa_exception_fp_ieee_div_zero 0
		.amdhsa_exception_fp_ieee_overflow 0
		.amdhsa_exception_fp_ieee_underflow 0
		.amdhsa_exception_fp_ieee_inexact 0
		.amdhsa_exception_int_div_zero 0
	.end_amdhsa_kernel
	.section	.text._Z30fast_hadamard_transform_kernelI37fast_hadamard_transform_kernel_traitsILi256ELi11E14__hip_bfloat16EEv18HadamardParamsBase,"axG",@progbits,_Z30fast_hadamard_transform_kernelI37fast_hadamard_transform_kernel_traitsILi256ELi11E14__hip_bfloat16EEv18HadamardParamsBase,comdat
.Lfunc_end34:
	.size	_Z30fast_hadamard_transform_kernelI37fast_hadamard_transform_kernel_traitsILi256ELi11E14__hip_bfloat16EEv18HadamardParamsBase, .Lfunc_end34-_Z30fast_hadamard_transform_kernelI37fast_hadamard_transform_kernel_traitsILi256ELi11E14__hip_bfloat16EEv18HadamardParamsBase
                                        ; -- End function
	.set _Z30fast_hadamard_transform_kernelI37fast_hadamard_transform_kernel_traitsILi256ELi11E14__hip_bfloat16EEv18HadamardParamsBase.num_vgpr, 24
	.set _Z30fast_hadamard_transform_kernelI37fast_hadamard_transform_kernel_traitsILi256ELi11E14__hip_bfloat16EEv18HadamardParamsBase.num_agpr, 0
	.set _Z30fast_hadamard_transform_kernelI37fast_hadamard_transform_kernel_traitsILi256ELi11E14__hip_bfloat16EEv18HadamardParamsBase.numbered_sgpr, 12
	.set _Z30fast_hadamard_transform_kernelI37fast_hadamard_transform_kernel_traitsILi256ELi11E14__hip_bfloat16EEv18HadamardParamsBase.num_named_barrier, 0
	.set _Z30fast_hadamard_transform_kernelI37fast_hadamard_transform_kernel_traitsILi256ELi11E14__hip_bfloat16EEv18HadamardParamsBase.private_seg_size, 0
	.set _Z30fast_hadamard_transform_kernelI37fast_hadamard_transform_kernel_traitsILi256ELi11E14__hip_bfloat16EEv18HadamardParamsBase.uses_vcc, 1
	.set _Z30fast_hadamard_transform_kernelI37fast_hadamard_transform_kernel_traitsILi256ELi11E14__hip_bfloat16EEv18HadamardParamsBase.uses_flat_scratch, 0
	.set _Z30fast_hadamard_transform_kernelI37fast_hadamard_transform_kernel_traitsILi256ELi11E14__hip_bfloat16EEv18HadamardParamsBase.has_dyn_sized_stack, 0
	.set _Z30fast_hadamard_transform_kernelI37fast_hadamard_transform_kernel_traitsILi256ELi11E14__hip_bfloat16EEv18HadamardParamsBase.has_recursion, 0
	.set _Z30fast_hadamard_transform_kernelI37fast_hadamard_transform_kernel_traitsILi256ELi11E14__hip_bfloat16EEv18HadamardParamsBase.has_indirect_call, 0
	.section	.AMDGPU.csdata,"",@progbits
; Kernel info:
; codeLenInByte = 2616
; TotalNumSgprs: 14
; NumVgprs: 24
; ScratchSize: 0
; MemoryBound: 0
; FloatMode: 240
; IeeeMode: 1
; LDSByteSize: 0 bytes/workgroup (compile time only)
; SGPRBlocks: 0
; VGPRBlocks: 2
; NumSGPRsForWavesPerEU: 14
; NumVGPRsForWavesPerEU: 24
; Occupancy: 16
; WaveLimiterHint : 0
; COMPUTE_PGM_RSRC2:SCRATCH_EN: 0
; COMPUTE_PGM_RSRC2:USER_SGPR: 6
; COMPUTE_PGM_RSRC2:TRAP_HANDLER: 0
; COMPUTE_PGM_RSRC2:TGID_X_EN: 1
; COMPUTE_PGM_RSRC2:TGID_Y_EN: 0
; COMPUTE_PGM_RSRC2:TGID_Z_EN: 0
; COMPUTE_PGM_RSRC2:TIDIG_COMP_CNT: 0
	.section	.text._Z30fast_hadamard_transform_kernelI37fast_hadamard_transform_kernel_traitsILi256ELi12E14__hip_bfloat16EEv18HadamardParamsBase,"axG",@progbits,_Z30fast_hadamard_transform_kernelI37fast_hadamard_transform_kernel_traitsILi256ELi12E14__hip_bfloat16EEv18HadamardParamsBase,comdat
	.protected	_Z30fast_hadamard_transform_kernelI37fast_hadamard_transform_kernel_traitsILi256ELi12E14__hip_bfloat16EEv18HadamardParamsBase ; -- Begin function _Z30fast_hadamard_transform_kernelI37fast_hadamard_transform_kernel_traitsILi256ELi12E14__hip_bfloat16EEv18HadamardParamsBase
	.globl	_Z30fast_hadamard_transform_kernelI37fast_hadamard_transform_kernel_traitsILi256ELi12E14__hip_bfloat16EEv18HadamardParamsBase
	.p2align	8
	.type	_Z30fast_hadamard_transform_kernelI37fast_hadamard_transform_kernel_traitsILi256ELi12E14__hip_bfloat16EEv18HadamardParamsBase,@function
_Z30fast_hadamard_transform_kernelI37fast_hadamard_transform_kernel_traitsILi256ELi12E14__hip_bfloat16EEv18HadamardParamsBase: ; @_Z30fast_hadamard_transform_kernelI37fast_hadamard_transform_kernel_traitsILi256ELi12E14__hip_bfloat16EEv18HadamardParamsBase
; %bb.0:
	s_clause 0x3
	s_load_dwordx4 s[8:11], s[4:5], 0x10
	s_load_dword s1, s[4:5], 0x4
	s_load_dwordx4 s[12:15], s[4:5], 0x28
	s_load_dword s7, s[4:5], 0x44
	s_ashr_i32 s16, s6, 31
	v_lshlrev_b32_e32 v9, 3, v0
	v_mov_b32_e32 v1, 0
	v_mov_b32_e32 v2, 0
	;; [unrolled: 1-line block ×8, first 2 shown]
	v_lshlrev_b32_e32 v17, 4, v0
	s_waitcnt lgkmcnt(0)
	s_mul_hi_u32 s0, s8, s6
	s_mul_i32 s2, s8, s16
	s_mul_i32 s3, s9, s6
	s_add_i32 s0, s0, s2
	s_mul_i32 s2, s8, s6
	s_add_i32 s3, s0, s3
	v_cmp_gt_u32_e64 s0, s1, v9
	s_lshl_b64 s[2:3], s[2:3], 1
	v_mov_b32_e32 v9, 0
	s_add_u32 s2, s12, s2
	s_addc_u32 s3, s13, s3
	s_and_saveexec_b32 s8, s0
	s_cbranch_execz .LBB35_2
; %bb.1:
	global_load_dwordx4 v[10:13], v17, s[2:3]
	s_waitcnt vmcnt(0)
	v_lshlrev_b32_e32 v9, 16, v10
	v_and_b32_e32 v8, 0xffff0000, v10
	v_lshlrev_b32_e32 v7, 16, v11
	v_and_b32_e32 v6, 0xffff0000, v11
	;; [unrolled: 2-line block ×4, first 2 shown]
.LBB35_2:
	s_or_b32 exec_lo, exec_lo, s8
	s_and_b32 s7, 0xffff, s7
	v_mov_b32_e32 v10, 0
	v_add_nc_u32_e32 v16, s7, v0
	v_mov_b32_e32 v11, 0
	v_mov_b32_e32 v12, 0
	;; [unrolled: 1-line block ×4, first 2 shown]
	v_lshlrev_b32_e32 v18, 3, v16
	v_mov_b32_e32 v15, 0
	v_lshlrev_b32_e32 v16, 4, v16
	v_cmp_gt_u32_e32 vcc_lo, s1, v18
	v_mov_b32_e32 v18, 0
	s_and_saveexec_b32 s1, vcc_lo
	s_cbranch_execz .LBB35_4
; %bb.3:
	global_load_dwordx4 v[19:22], v16, s[2:3]
	s_waitcnt vmcnt(0)
	v_lshlrev_b32_e32 v18, 16, v19
	v_and_b32_e32 v15, 0xffff0000, v19
	v_lshlrev_b32_e32 v14, 16, v20
	v_and_b32_e32 v13, 0xffff0000, v20
	;; [unrolled: 2-line block ×4, first 2 shown]
.LBB35_4:
	s_or_b32 exec_lo, exec_lo, s1
	v_mbcnt_lo_u32_b32 v20, -1, 0
	v_add_f32_e32 v19, v8, v9
	v_sub_f32_e32 v8, v9, v8
	v_add_f32_e32 v9, v15, v18
	v_sub_f32_e32 v15, v18, v15
	v_xor_b32_e32 v21, 1, v20
	v_add_f32_e32 v18, v6, v7
	v_sub_f32_e32 v6, v7, v6
	v_add_f32_e32 v7, v13, v14
	v_sub_f32_e32 v13, v14, v13
	;; [unrolled: 2-line block ×6, first 2 shown]
	v_cmp_gt_i32_e64 s1, 32, v21
	v_add_f32_e32 v10, v18, v19
	v_sub_f32_e32 v18, v19, v18
	v_add_f32_e32 v19, v7, v9
	v_sub_f32_e32 v7, v9, v7
	;; [unrolled: 2-line block ×8, first 2 shown]
	v_cndmask_b32_e64 v1, v20, v21, s1
	v_add_f32_e32 v22, v15, v10
	v_sub_f32_e32 v10, v10, v15
	v_add_f32_e32 v15, v14, v19
	v_sub_f32_e32 v14, v19, v14
	v_add_f32_e32 v19, v5, v9
	v_lshlrev_b32_e32 v1, 2, v1
	v_sub_f32_e32 v5, v9, v5
	v_add_f32_e32 v9, v12, v18
	v_sub_f32_e32 v12, v18, v12
	v_and_b32_e32 v18, 1, v0
	v_add_f32_e32 v21, v4, v8
	v_sub_f32_e32 v4, v8, v4
	ds_bpermute_b32 v8, v1, v22
	ds_bpermute_b32 v23, v1, v19
	;; [unrolled: 1-line block ×3, first 2 shown]
	v_add_f32_e32 v26, v2, v6
	v_sub_f32_e32 v2, v6, v2
	v_cmp_eq_u32_e64 s1, 0, v18
	v_add_f32_e32 v25, v3, v7
	v_sub_f32_e32 v3, v7, v3
	ds_bpermute_b32 v7, v1, v26
	ds_bpermute_b32 v18, v1, v10
	v_cndmask_b32_e64 v6, -v22, v22, s1
	ds_bpermute_b32 v22, v1, v5
	ds_bpermute_b32 v28, v1, v2
	v_cndmask_b32_e64 v19, -v19, v19, s1
	v_cndmask_b32_e64 v9, -v9, v9, s1
	v_add_f32_e32 v29, v11, v13
	v_sub_f32_e32 v11, v13, v11
	v_cndmask_b32_e64 v13, -v26, v26, s1
	v_cndmask_b32_e64 v10, -v10, v10, s1
	;; [unrolled: 1-line block ×3, first 2 shown]
	s_waitcnt lgkmcnt(6)
	v_add_f32_e32 v6, v6, v8
	s_waitcnt lgkmcnt(5)
	v_add_f32_e32 v8, v19, v23
	;; [unrolled: 2-line block ×3, first 2 shown]
	ds_bpermute_b32 v19, v1, v15
	ds_bpermute_b32 v23, v1, v21
	;; [unrolled: 1-line block ×3, first 2 shown]
	v_cndmask_b32_e64 v2, -v2, v2, s1
	ds_bpermute_b32 v26, v1, v4
	s_waitcnt lgkmcnt(7)
	v_add_f32_e32 v7, v13, v7
	s_waitcnt lgkmcnt(6)
	v_add_f32_e32 v10, v10, v18
	v_xor_b32_e32 v18, 2, v20
	s_waitcnt lgkmcnt(5)
	v_add_f32_e32 v5, v5, v22
	s_waitcnt lgkmcnt(4)
	v_add_f32_e32 v13, v2, v28
	v_cndmask_b32_e64 v2, -v15, v15, s1
	ds_bpermute_b32 v15, v1, v29
	ds_bpermute_b32 v22, v1, v14
	v_cmp_gt_i32_e64 s2, 32, v18
	v_cndmask_b32_e64 v21, -v21, v21, s1
	v_cndmask_b32_e64 v25, -v25, v25, s1
	;; [unrolled: 1-line block ×3, first 2 shown]
	ds_bpermute_b32 v27, v1, v12
	v_cndmask_b32_e64 v18, v20, v18, s2
	v_cndmask_b32_e64 v4, -v4, v4, s1
	s_waitcnt lgkmcnt(6)
	v_add_f32_e32 v19, v2, v19
	s_waitcnt lgkmcnt(5)
	v_add_f32_e32 v21, v21, v23
	;; [unrolled: 2-line block ×3, first 2 shown]
	v_cndmask_b32_e64 v24, -v29, v29, s1
	v_lshlrev_b32_e32 v2, 2, v18
	ds_bpermute_b32 v18, v1, v3
	ds_bpermute_b32 v25, v1, v11
	s_waitcnt lgkmcnt(5)
	v_add_f32_e32 v4, v4, v26
	v_cndmask_b32_e64 v3, -v3, v3, s1
	ds_bpermute_b32 v26, v2, v5
	ds_bpermute_b32 v28, v2, v8
	s_waitcnt lgkmcnt(6)
	v_add_f32_e32 v15, v24, v15
	v_and_b32_e32 v24, 2, v0
	s_waitcnt lgkmcnt(5)
	v_add_f32_e32 v14, v14, v22
	ds_bpermute_b32 v22, v2, v7
	v_cndmask_b32_e64 v12, -v12, v12, s1
	v_cndmask_b32_e64 v11, -v11, v11, s1
	v_cmp_eq_u32_e64 s2, 0, v24
	ds_bpermute_b32 v24, v2, v10
	ds_bpermute_b32 v29, v2, v9
	s_waitcnt lgkmcnt(7)
	v_add_f32_e32 v12, v12, v27
	ds_bpermute_b32 v27, v2, v6
	v_cndmask_b32_e64 v5, -v5, v5, s2
	v_cndmask_b32_e64 v8, -v8, v8, s2
	;; [unrolled: 1-line block ×3, first 2 shown]
	s_waitcnt lgkmcnt(7)
	v_add_f32_e32 v18, v3, v18
	v_cndmask_b32_e64 v3, -v7, v7, s2
	s_waitcnt lgkmcnt(6)
	v_add_f32_e32 v11, v11, v25
	v_cndmask_b32_e64 v7, -v10, v10, s2
	ds_bpermute_b32 v10, v2, v19
	ds_bpermute_b32 v25, v2, v21
	s_waitcnt lgkmcnt(7)
	v_add_f32_e32 v5, v5, v26
	ds_bpermute_b32 v26, v2, v14
	s_waitcnt lgkmcnt(7)
	v_add_f32_e32 v8, v8, v28
	s_waitcnt lgkmcnt(6)
	v_add_f32_e32 v22, v3, v22
	v_cndmask_b32_e64 v3, -v19, v19, s2
	ds_bpermute_b32 v19, v2, v15
	ds_bpermute_b32 v28, v2, v4
	s_waitcnt lgkmcnt(7)
	v_add_f32_e32 v7, v7, v24
	v_xor_b32_e32 v24, 4, v20
	v_cndmask_b32_e64 v21, -v21, v21, s2
	v_cndmask_b32_e64 v15, -v15, v15, s2
	ds_bpermute_b32 v30, v2, v12
	s_waitcnt lgkmcnt(6)
	v_add_f32_e32 v6, v6, v27
	v_cmp_gt_i32_e64 s3, 32, v24
	ds_bpermute_b32 v27, v2, v23
	v_cndmask_b32_e64 v14, -v14, v14, s2
	v_cndmask_b32_e64 v4, -v4, v4, s2
	ds_bpermute_b32 v31, v2, v13
	v_cndmask_b32_e64 v24, v20, v24, s3
	s_waitcnt lgkmcnt(7)
	v_add_f32_e32 v10, v3, v10
	s_waitcnt lgkmcnt(6)
	v_add_f32_e32 v21, v21, v25
	ds_bpermute_b32 v25, v2, v11
	s_waitcnt lgkmcnt(6)
	v_add_f32_e32 v14, v14, v26
	v_lshlrev_b32_e32 v3, 2, v24
	ds_bpermute_b32 v24, v2, v18
	s_waitcnt lgkmcnt(6)
	v_add_f32_e32 v15, v15, v19
	v_and_b32_e32 v19, 4, v0
	v_cndmask_b32_e64 v9, -v9, v9, s2
	ds_bpermute_b32 v26, v3, v7
	s_waitcnt lgkmcnt(6)
	v_add_f32_e32 v4, v4, v28
	ds_bpermute_b32 v28, v3, v5
	v_cmp_eq_u32_e64 s3, 0, v19
	ds_bpermute_b32 v19, v3, v22
	v_add_f32_e32 v9, v9, v29
	v_cndmask_b32_e64 v12, -v12, v12, s2
	v_cndmask_b32_e64 v23, -v23, v23, s2
	;; [unrolled: 1-line block ×4, first 2 shown]
	ds_bpermute_b32 v29, v3, v8
	s_waitcnt lgkmcnt(8)
	v_add_f32_e32 v12, v12, v30
	s_waitcnt lgkmcnt(7)
	v_add_f32_e32 v23, v23, v27
	ds_bpermute_b32 v27, v3, v6
	ds_bpermute_b32 v30, v3, v9
	s_waitcnt lgkmcnt(7)
	v_add_f32_e32 v11, v11, v25
	s_waitcnt lgkmcnt(6)
	v_add_f32_e32 v18, v18, v24
	v_cndmask_b32_e64 v22, -v22, v22, s3
	v_cndmask_b32_e64 v7, -v7, v7, s3
	ds_bpermute_b32 v24, v3, v10
	ds_bpermute_b32 v25, v3, v21
	v_cndmask_b32_e64 v13, -v13, v13, s2
	v_cndmask_b32_e64 v5, -v5, v5, s3
	s_waitcnt lgkmcnt(7)
	v_add_f32_e32 v7, v7, v26
	s_waitcnt lgkmcnt(5)
	v_add_f32_e32 v19, v22, v19
	ds_bpermute_b32 v22, v3, v15
	v_xor_b32_e32 v26, 8, v20
	v_add_f32_e32 v13, v13, v31
	ds_bpermute_b32 v31, v3, v12
	v_add_f32_e32 v5, v5, v28
	ds_bpermute_b32 v28, v3, v14
	v_cmp_gt_i32_e64 s7, 32, v26
	v_cndmask_b32_e64 v6, -v6, v6, s3
	v_cndmask_b32_e64 v8, -v8, v8, s3
	;; [unrolled: 1-line block ×5, first 2 shown]
	v_cndmask_b32_e64 v26, v20, v26, s7
	s_waitcnt lgkmcnt(6)
	v_add_f32_e32 v6, v6, v27
	v_add_f32_e32 v8, v8, v29
	s_waitcnt lgkmcnt(5)
	v_add_f32_e32 v9, v9, v30
	ds_bpermute_b32 v27, v3, v23
	ds_bpermute_b32 v29, v3, v4
	s_waitcnt lgkmcnt(6)
	v_add_f32_e32 v10, v10, v24
	s_waitcnt lgkmcnt(5)
	v_add_f32_e32 v21, v21, v25
	v_cndmask_b32_e64 v15, -v15, v15, s3
	v_lshlrev_b32_e32 v24, 2, v26
	ds_bpermute_b32 v25, v3, v18
	v_cndmask_b32_e64 v12, -v12, v12, s3
	v_cndmask_b32_e64 v14, -v14, v14, s3
	s_waitcnt lgkmcnt(5)
	v_add_f32_e32 v15, v15, v22
	ds_bpermute_b32 v22, v24, v9
	ds_bpermute_b32 v32, v3, v13
	s_waitcnt lgkmcnt(6)
	v_add_f32_e32 v12, v12, v31
	v_and_b32_e32 v31, 8, v0
	s_waitcnt lgkmcnt(5)
	v_add_f32_e32 v14, v14, v28
	ds_bpermute_b32 v28, v24, v19
	v_cndmask_b32_e64 v23, -v23, v23, s3
	v_cndmask_b32_e64 v4, -v4, v4, s3
	ds_bpermute_b32 v26, v3, v11
	v_cndmask_b32_e64 v18, -v18, v18, s3
	v_cmp_eq_u32_e64 s7, 0, v31
	ds_bpermute_b32 v31, v24, v5
	s_waitcnt lgkmcnt(7)
	v_add_f32_e32 v23, v23, v27
	ds_bpermute_b32 v27, v24, v6
	ds_bpermute_b32 v30, v24, v8
	s_waitcnt lgkmcnt(8)
	v_add_f32_e32 v4, v4, v29
	ds_bpermute_b32 v29, v24, v7
	s_waitcnt lgkmcnt(8)
	v_add_f32_e32 v18, v18, v25
	v_cndmask_b32_e64 v9, -v9, v9, s7
	ds_bpermute_b32 v25, v24, v10
	v_cndmask_b32_e64 v13, -v13, v13, s3
	v_cndmask_b32_e64 v19, -v19, v19, s7
	;; [unrolled: 1-line block ×3, first 2 shown]
	s_waitcnt lgkmcnt(8)
	v_add_f32_e32 v9, v9, v22
	ds_bpermute_b32 v22, v24, v21
	s_waitcnt lgkmcnt(8)
	v_add_f32_e32 v13, v13, v32
	ds_bpermute_b32 v32, v24, v12
	v_cndmask_b32_e64 v5, -v5, v5, s7
	s_waitcnt lgkmcnt(8)
	v_add_f32_e32 v19, v19, v28
	v_xor_b32_e32 v28, 16, v20
	v_cndmask_b32_e64 v6, -v6, v6, s7
	v_cndmask_b32_e64 v8, -v8, v8, s7
	s_waitcnt lgkmcnt(7)
	v_add_f32_e32 v11, v11, v26
	v_cndmask_b32_e64 v7, -v7, v7, s7
	s_waitcnt lgkmcnt(6)
	v_add_f32_e32 v26, v5, v31
	v_cndmask_b32_e64 v5, -v10, v10, s7
	v_cmp_gt_i32_e64 s8, 32, v28
	ds_bpermute_b32 v33, v24, v13
	s_waitcnt lgkmcnt(6)
	v_add_f32_e32 v6, v6, v27
	s_waitcnt lgkmcnt(5)
	v_add_f32_e32 v8, v8, v30
	;; [unrolled: 2-line block ×3, first 2 shown]
	ds_bpermute_b32 v10, v24, v23
	ds_bpermute_b32 v27, v24, v15
	;; [unrolled: 1-line block ×3, first 2 shown]
	v_cndmask_b32_e64 v21, -v21, v21, s7
	ds_bpermute_b32 v30, v24, v4
	s_waitcnt lgkmcnt(7)
	v_add_f32_e32 v25, v5, v25
	v_cndmask_b32_e64 v5, v20, v28, s8
	v_cndmask_b32_e64 v12, -v12, v12, s7
	s_waitcnt lgkmcnt(6)
	v_add_f32_e32 v20, v21, v22
	v_cndmask_b32_e64 v21, -v23, v23, s7
	ds_bpermute_b32 v23, v24, v11
	v_lshlrev_b32_e32 v22, 2, v5
	s_waitcnt lgkmcnt(6)
	v_add_f32_e32 v12, v12, v32
	ds_bpermute_b32 v5, v24, v18
	v_cndmask_b32_e64 v13, -v13, v13, s7
	v_cndmask_b32_e64 v15, -v15, v15, s7
	ds_bpermute_b32 v28, v22, v6
	ds_bpermute_b32 v31, v22, v8
	;; [unrolled: 1-line block ×3, first 2 shown]
	v_cndmask_b32_e64 v14, -v14, v14, s7
	v_cndmask_b32_e64 v4, -v4, v4, s7
	v_and_b32_e32 v24, 16, v0
	s_waitcnt lgkmcnt(9)
	v_add_f32_e32 v13, v13, v33
	s_waitcnt lgkmcnt(8)
	v_add_f32_e32 v21, v21, v10
	;; [unrolled: 2-line block ×4, first 2 shown]
	v_cmp_eq_u32_e64 s8, 0, v24
	s_waitcnt lgkmcnt(5)
	v_add_f32_e32 v24, v4, v30
	v_cndmask_b32_e64 v4, -v18, v18, s7
	v_cndmask_b32_e64 v10, -v11, v11, s7
	ds_bpermute_b32 v11, v22, v19
	ds_bpermute_b32 v18, v22, v7
	ds_bpermute_b32 v27, v22, v26
	ds_bpermute_b32 v29, v22, v12
	v_cndmask_b32_e64 v6, -v6, v6, s8
	v_cndmask_b32_e64 v8, -v8, v8, s8
	;; [unrolled: 1-line block ×3, first 2 shown]
	ds_bpermute_b32 v30, v22, v13
	s_waitcnt lgkmcnt(8)
	v_add_f32_e32 v33, v4, v5
	v_add_f32_e32 v23, v10, v23
	s_waitcnt lgkmcnt(7)
	v_add_f32_e32 v4, v6, v28
	s_waitcnt lgkmcnt(6)
	;; [unrolled: 2-line block ×3, first 2 shown]
	v_add_f32_e32 v6, v9, v32
	v_cndmask_b32_e64 v8, -v19, v19, s8
	v_cndmask_b32_e64 v10, -v26, v26, s8
	ds_bpermute_b32 v19, v22, v25
	ds_bpermute_b32 v26, v22, v20
	;; [unrolled: 1-line block ×4, first 2 shown]
	v_cndmask_b32_e64 v9, -v7, v7, s8
	v_cndmask_b32_e64 v12, -v12, v12, s8
	ds_bpermute_b32 v31, v22, v15
	v_cndmask_b32_e64 v13, -v13, v13, s8
	s_waitcnt lgkmcnt(9)
	v_add_f32_e32 v7, v8, v11
	s_waitcnt lgkmcnt(8)
	v_add_f32_e32 v8, v9, v18
	;; [unrolled: 2-line block ×4, first 2 shown]
	v_cndmask_b32_e64 v12, -v25, v25, s8
	ds_bpermute_b32 v25, v22, v24
	ds_bpermute_b32 v27, v22, v33
	;; [unrolled: 1-line block ×3, first 2 shown]
	s_waitcnt lgkmcnt(8)
	v_add_f32_e32 v11, v13, v30
	v_cndmask_b32_e64 v13, -v20, v20, s8
	v_cndmask_b32_e64 v18, -v21, v21, s8
	;; [unrolled: 1-line block ×3, first 2 shown]
	s_waitcnt lgkmcnt(7)
	v_add_f32_e32 v12, v12, v19
	v_lshrrev_b32_e32 v19, 5, v0
	s_waitcnt lgkmcnt(6)
	v_add_f32_e32 v13, v13, v26
	s_waitcnt lgkmcnt(5)
	v_add_f32_e32 v14, v18, v28
	;; [unrolled: 2-line block ×3, first 2 shown]
	v_and_b32_e32 v26, 7, v0
	v_lshrrev_b32_e32 v20, 3, v0
	v_cndmask_b32_e64 v21, -v24, v24, s8
	v_cndmask_b32_e64 v23, -v23, v23, s8
	v_xor_b32_e32 v0, v19, v0
	v_cndmask_b32_e64 v24, -v33, v33, s8
	v_lshl_or_b32 v28, v26, 5, v20
	v_cndmask_b32_e64 v15, -v15, v15, s8
	s_waitcnt lgkmcnt(2)
	v_add_f32_e32 v19, v21, v25
	s_waitcnt lgkmcnt(0)
	v_add_f32_e32 v21, v23, v22
	v_lshl_add_u32 v22, v0, 4, 0
	v_xor_b32_e32 v0, v28, v26
	v_add_f32_e32 v20, v24, v27
	v_add_f32_e32 v15, v15, v31
	s_barrier
	buffer_gl0_inv
	v_lshl_add_u32 v23, v0, 4, 0
	ds_write_b128 v22, v[4:7]
	ds_write_b128 v22, v[8:11] offset:4096
	ds_write_b128 v22, v[12:15] offset:8192
	;; [unrolled: 1-line block ×3, first 2 shown]
	s_waitcnt lgkmcnt(0)
	s_barrier
	buffer_gl0_inv
	ds_read_b128 v[4:7], v23
	ds_read_b128 v[8:11], v23 offset:4096
	ds_read_b128 v[12:15], v23 offset:8192
	;; [unrolled: 1-line block ×3, first 2 shown]
	s_waitcnt lgkmcnt(0)
	s_barrier
	buffer_gl0_inv
	s_load_dword s4, s[4:5], 0x20
	ds_bpermute_b32 v0, v1, v4
	ds_bpermute_b32 v24, v1, v5
	ds_bpermute_b32 v25, v1, v6
	ds_bpermute_b32 v26, v1, v7
	ds_bpermute_b32 v27, v1, v8
	ds_bpermute_b32 v29, v1, v10
	ds_bpermute_b32 v28, v1, v9
	v_cndmask_b32_e64 v4, -v4, v4, s1
	v_cndmask_b32_e64 v5, -v5, v5, s1
	;; [unrolled: 1-line block ×3, first 2 shown]
	ds_bpermute_b32 v30, v1, v11
	ds_bpermute_b32 v31, v1, v15
	;; [unrolled: 1-line block ×3, first 2 shown]
	v_cndmask_b32_e64 v15, -v15, v15, s1
	v_cndmask_b32_e64 v18, -v18, v18, s1
	s_waitcnt lgkmcnt(0)
	v_add_f32_e32 v0, v4, v0
	v_add_f32_e32 v4, v5, v24
	;; [unrolled: 1-line block ×3, first 2 shown]
	v_cndmask_b32_e64 v6, -v7, v7, s1
	v_cndmask_b32_e64 v7, -v8, v8, s1
	;; [unrolled: 1-line block ×5, first 2 shown]
	ds_bpermute_b32 v11, v1, v12
	ds_bpermute_b32 v24, v1, v13
	;; [unrolled: 1-line block ×3, first 2 shown]
	v_add_f32_e32 v6, v6, v26
	v_add_f32_e32 v7, v7, v27
	;; [unrolled: 1-line block ×3, first 2 shown]
	ds_bpermute_b32 v26, v1, v19
	ds_bpermute_b32 v27, v1, v20
	;; [unrolled: 1-line block ×4, first 2 shown]
	v_add_f32_e32 v8, v8, v28
	ds_bpermute_b32 v28, v2, v0
	v_cndmask_b32_e64 v12, -v12, v12, s1
	v_cndmask_b32_e64 v13, -v13, v13, s1
	;; [unrolled: 1-line block ×3, first 2 shown]
	v_add_f32_e32 v10, v10, v30
	v_cndmask_b32_e64 v4, -v4, v4, s2
	ds_bpermute_b32 v30, v2, v8
	v_cndmask_b32_e64 v0, -v0, v0, s2
	s_waitcnt lgkmcnt(8)
	v_add_f32_e32 v11, v12, v11
	s_waitcnt lgkmcnt(7)
	v_add_f32_e32 v12, v13, v24
	;; [unrolled: 2-line block ×3, first 2 shown]
	v_add_f32_e32 v14, v15, v31
	v_add_f32_e32 v15, v18, v32
	v_cndmask_b32_e64 v18, -v19, v19, s1
	v_cndmask_b32_e64 v19, -v20, v20, s1
	;; [unrolled: 1-line block ×3, first 2 shown]
	ds_bpermute_b32 v21, v2, v5
	ds_bpermute_b32 v24, v2, v6
	;; [unrolled: 1-line block ×4, first 2 shown]
	s_waitcnt lgkmcnt(7)
	v_add_f32_e32 v1, v20, v1
	s_waitcnt lgkmcnt(6)
	v_add_f32_e32 v20, v4, v29
	v_cndmask_b32_e64 v4, -v5, v5, s2
	v_cndmask_b32_e64 v5, -v6, v6, s2
	;; [unrolled: 1-line block ×5, first 2 shown]
	ds_bpermute_b32 v9, v2, v10
	v_add_f32_e32 v18, v18, v26
	v_add_f32_e32 v19, v19, v27
	s_waitcnt lgkmcnt(6)
	v_add_f32_e32 v0, v0, v28
	ds_bpermute_b32 v26, v2, v11
	ds_bpermute_b32 v27, v2, v12
	;; [unrolled: 1-line block ×4, first 2 shown]
	s_waitcnt lgkmcnt(9)
	v_add_f32_e32 v7, v7, v30
	s_waitcnt lgkmcnt(8)
	v_add_f32_e32 v21, v4, v21
	v_cndmask_b32_e64 v4, -v10, v10, s2
	v_cndmask_b32_e64 v10, -v11, v11, s2
	;; [unrolled: 1-line block ×5, first 2 shown]
	ds_bpermute_b32 v14, v2, v15
	ds_bpermute_b32 v30, v3, v0
	s_waitcnt lgkmcnt(9)
	v_add_f32_e32 v5, v5, v24
	s_waitcnt lgkmcnt(8)
	v_add_f32_e32 v6, v6, v25
	ds_bpermute_b32 v24, v2, v18
	ds_bpermute_b32 v25, v2, v19
	;; [unrolled: 1-line block ×3, first 2 shown]
	s_waitcnt lgkmcnt(9)
	v_add_f32_e32 v9, v4, v9
	v_cndmask_b32_e64 v4, -v15, v15, s2
	v_cndmask_b32_e64 v15, -v18, v18, s2
	;; [unrolled: 1-line block ×3, first 2 shown]
	ds_bpermute_b32 v19, v3, v20
	s_waitcnt lgkmcnt(9)
	v_add_f32_e32 v10, v10, v26
	s_waitcnt lgkmcnt(8)
	v_add_f32_e32 v11, v11, v27
	;; [unrolled: 2-line block ×4, first 2 shown]
	ds_bpermute_b32 v26, v3, v21
	ds_bpermute_b32 v27, v3, v5
	;; [unrolled: 1-line block ×4, first 2 shown]
	v_cndmask_b32_e64 v0, -v0, v0, s3
	v_cndmask_b32_e64 v1, -v1, v1, s2
	v_add_f32_e32 v8, v8, v31
	s_waitcnt lgkmcnt(9)
	v_add_f32_e32 v14, v4, v14
	s_waitcnt lgkmcnt(7)
	v_add_f32_e32 v15, v15, v24
	v_add_f32_e32 v4, v0, v30
	v_cndmask_b32_e64 v0, -v20, v20, s3
	s_waitcnt lgkmcnt(6)
	v_add_f32_e32 v18, v18, v25
	s_waitcnt lgkmcnt(5)
	v_add_f32_e32 v24, v1, v2
	v_cndmask_b32_e64 v1, -v21, v21, s3
	v_cndmask_b32_e64 v2, -v5, v5, s3
	;; [unrolled: 1-line block ×4, first 2 shown]
	ds_bpermute_b32 v25, v3, v8
	ds_bpermute_b32 v30, v3, v9
	;; [unrolled: 1-line block ×5, first 2 shown]
	s_waitcnt lgkmcnt(9)
	v_add_f32_e32 v5, v0, v19
	ds_bpermute_b32 v19, v3, v13
	s_waitcnt lgkmcnt(9)
	v_add_f32_e32 v6, v1, v26
	s_waitcnt lgkmcnt(8)
	v_add_f32_e32 v7, v2, v27
	;; [unrolled: 2-line block ×4, first 2 shown]
	ds_bpermute_b32 v20, v3, v14
	ds_bpermute_b32 v21, v3, v15
	;; [unrolled: 1-line block ×4, first 2 shown]
	v_cndmask_b32_e64 v2, -v8, v8, s3
	v_cndmask_b32_e64 v3, -v9, v9, s3
	;; [unrolled: 1-line block ×10, first 2 shown]
	s_waitcnt lgkmcnt(9)
	v_add_f32_e32 v2, v2, v25
	s_waitcnt lgkmcnt(8)
	v_add_f32_e32 v3, v3, v30
	;; [unrolled: 2-line block ×10, first 2 shown]
	ds_write_b128 v23, v[4:7]
	ds_write_b128 v23, v[0:3] offset:4096
	ds_write_b128 v23, v[8:11] offset:8192
	;; [unrolled: 1-line block ×3, first 2 shown]
	s_waitcnt lgkmcnt(0)
	s_barrier
	buffer_gl0_inv
	ds_read_b128 v[8:11], v22
	ds_read_b128 v[0:3], v22 offset:4096
	ds_read_b128 v[12:15], v22 offset:8192
	ds_read_b128 v[4:7], v22 offset:12288
	s_mul_i32 s1, s10, s16
	s_mul_hi_u32 s2, s10, s6
	s_add_i32 s1, s2, s1
	s_mul_i32 s2, s11, s6
	s_add_i32 s3, s1, s2
	s_mul_i32 s2, s10, s6
	s_lshl_b64 s[2:3], s[2:3], 1
	s_add_u32 s2, s14, s2
	s_addc_u32 s3, s15, s3
	s_and_saveexec_b32 s1, s0
	s_cbranch_execnz .LBB35_7
; %bb.5:
	s_or_b32 exec_lo, exec_lo, s1
	s_and_saveexec_b32 s0, vcc_lo
	s_cbranch_execnz .LBB35_8
.LBB35_6:
	s_endpgm
.LBB35_7:
	s_waitcnt lgkmcnt(0)
	v_add_f32_e32 v18, v3, v7
	v_add_f32_e32 v19, v2, v6
	;; [unrolled: 1-line block ×5, first 2 shown]
	v_mul_f32_e32 v18, s4, v18
	v_mul_f32_e32 v19, s4, v19
	;; [unrolled: 1-line block ×4, first 2 shown]
	v_add_f32_e32 v23, v10, v14
	v_bfe_u32 v26, v18, 16, 1
	v_bfe_u32 v27, v19, 16, 1
	v_or_b32_e32 v28, 0x400000, v18
	v_cmp_u_f32_e64 s0, v18, v18
	v_or_b32_e32 v29, 0x400000, v19
	v_add3_u32 v26, v26, v18, 0x7fff
	v_bfe_u32 v30, v20, 16, 1
	v_add3_u32 v27, v27, v19, 0x7fff
	v_mul_f32_e32 v22, s4, v22
	v_add_f32_e32 v24, v9, v13
	v_cndmask_b32_e64 v18, v26, v28, s0
	v_cmp_u_f32_e64 s0, v19, v19
	v_bfe_u32 v26, v21, 16, 1
	v_or_b32_e32 v28, 0x400000, v20
	v_add_f32_e32 v25, v8, v12
	v_cndmask_b32_e64 v19, v27, v29, s0
	v_add3_u32 v27, v30, v20, 0x7fff
	v_cmp_u_f32_e64 s0, v20, v20
	v_add3_u32 v26, v26, v21, 0x7fff
	v_or_b32_e32 v29, 0x400000, v21
	v_mul_f32_e32 v25, s4, v25
	v_cndmask_b32_e64 v20, v27, v28, s0
	v_bfe_u32 v27, v22, 16, 1
	v_cmp_u_f32_e64 s0, v21, v21
	v_mul_f32_e32 v21, s4, v23
	v_mul_f32_e32 v23, s4, v24
	v_or_b32_e32 v31, 0x400000, v25
	v_add3_u32 v24, v27, v22, 0x7fff
	v_cndmask_b32_e64 v26, v26, v29, s0
	v_or_b32_e32 v27, 0x400000, v22
	v_bfe_u32 v28, v21, 16, 1
	v_cmp_u_f32_e64 s0, v22, v22
	v_bfe_u32 v29, v23, 16, 1
	v_or_b32_e32 v30, 0x400000, v23
	v_perm_b32 v20, v20, v26, 0x7060302
	v_cndmask_b32_e64 v22, v24, v27, s0
	v_add3_u32 v27, v28, v21, 0x7fff
	v_or_b32_e32 v28, 0x400000, v21
	v_cmp_u_f32_e64 s0, v21, v21
	v_bfe_u32 v24, v25, 16, 1
	v_add3_u32 v29, v29, v23, 0x7fff
	v_perm_b32 v21, v18, v19, 0x7060302
	v_cndmask_b32_e64 v27, v27, v28, s0
	v_cmp_u_f32_e64 s0, v23, v23
	v_add3_u32 v24, v24, v25, 0x7fff
	v_perm_b32 v19, v22, v27, 0x7060302
	v_cndmask_b32_e64 v23, v29, v30, s0
	v_cmp_u_f32_e64 s0, v25, v25
	v_cndmask_b32_e64 v24, v24, v31, s0
	v_perm_b32 v18, v23, v24, 0x7060302
	global_store_dwordx4 v17, v[18:21], s[2:3]
	s_or_b32 exec_lo, exec_lo, s1
	s_and_saveexec_b32 s0, vcc_lo
	s_cbranch_execz .LBB35_6
.LBB35_8:
	s_waitcnt lgkmcnt(1)
	v_sub_f32_e32 v8, v8, v12
	v_sub_f32_e32 v9, v9, v13
	;; [unrolled: 1-line block ×4, first 2 shown]
	s_waitcnt lgkmcnt(0)
	v_sub_f32_e32 v0, v0, v4
	v_mul_f32_e32 v8, s4, v8
	v_mul_f32_e32 v4, s4, v9
	;; [unrolled: 1-line block ×5, first 2 shown]
	v_bfe_u32 v11, v8, 16, 1
	v_or_b32_e32 v12, 0x400000, v8
	v_cmp_u_f32_e32 vcc_lo, v8, v8
	v_bfe_u32 v15, v10, 16, 1
	v_or_b32_e32 v17, 0x400000, v10
	v_add3_u32 v11, v11, v8, 0x7fff
	v_bfe_u32 v18, v9, 16, 1
	v_sub_f32_e32 v1, v1, v5
	v_add3_u32 v15, v15, v10, 0x7fff
	v_sub_f32_e32 v2, v2, v6
	v_cndmask_b32_e32 v8, v11, v12, vcc_lo
	v_cmp_u_f32_e32 vcc_lo, v10, v10
	v_add3_u32 v11, v18, v9, 0x7fff
	v_or_b32_e32 v12, 0x400000, v9
	v_bfe_u32 v5, v0, 16, 1
	v_sub_f32_e32 v3, v3, v7
	v_cndmask_b32_e32 v10, v15, v17, vcc_lo
	v_cmp_u_f32_e32 vcc_lo, v9, v9
	v_mul_f32_e32 v1, s4, v1
	v_mul_f32_e32 v2, s4, v2
	;; [unrolled: 1-line block ×3, first 2 shown]
	v_add3_u32 v5, v5, v0, 0x7fff
	v_cndmask_b32_e32 v6, v11, v12, vcc_lo
	v_or_b32_e32 v7, 0x400000, v0
	v_bfe_u32 v9, v1, 16, 1
	v_bfe_u32 v11, v2, 16, 1
	v_cmp_u_f32_e32 vcc_lo, v0, v0
	v_bfe_u32 v12, v3, 16, 1
	v_bfe_u32 v13, v4, 16, 1
	v_or_b32_e32 v15, 0x400000, v1
	v_or_b32_e32 v14, 0x400000, v4
	v_cndmask_b32_e32 v0, v5, v7, vcc_lo
	v_add3_u32 v5, v9, v1, 0x7fff
	v_add3_u32 v7, v11, v2, 0x7fff
	v_or_b32_e32 v9, 0x400000, v2
	v_cmp_u_f32_e32 vcc_lo, v2, v2
	v_add3_u32 v11, v12, v3, 0x7fff
	v_or_b32_e32 v12, 0x400000, v3
	v_add3_u32 v13, v13, v4, 0x7fff
	v_cndmask_b32_e32 v2, v7, v9, vcc_lo
	v_cmp_u_f32_e32 vcc_lo, v3, v3
	v_cndmask_b32_e32 v3, v11, v12, vcc_lo
	v_cmp_u_f32_e32 vcc_lo, v1, v1
	v_perm_b32 v3, v3, v2, 0x7060302
	v_cndmask_b32_e32 v1, v5, v15, vcc_lo
	v_cmp_u_f32_e32 vcc_lo, v4, v4
	v_perm_b32 v2, v1, v0, 0x7060302
	v_cndmask_b32_e32 v4, v13, v14, vcc_lo
	v_perm_b32 v1, v6, v10, 0x7060302
	v_perm_b32 v0, v4, v8, 0x7060302
	global_store_dwordx4 v16, v[0:3], s[2:3]
	s_endpgm
	.section	.rodata,"a",@progbits
	.p2align	6, 0x0
	.amdhsa_kernel _Z30fast_hadamard_transform_kernelI37fast_hadamard_transform_kernel_traitsILi256ELi12E14__hip_bfloat16EEv18HadamardParamsBase
		.amdhsa_group_segment_fixed_size 0
		.amdhsa_private_segment_fixed_size 0
		.amdhsa_kernarg_size 312
		.amdhsa_user_sgpr_count 6
		.amdhsa_user_sgpr_private_segment_buffer 1
		.amdhsa_user_sgpr_dispatch_ptr 0
		.amdhsa_user_sgpr_queue_ptr 0
		.amdhsa_user_sgpr_kernarg_segment_ptr 1
		.amdhsa_user_sgpr_dispatch_id 0
		.amdhsa_user_sgpr_flat_scratch_init 0
		.amdhsa_user_sgpr_private_segment_size 0
		.amdhsa_wavefront_size32 1
		.amdhsa_uses_dynamic_stack 0
		.amdhsa_system_sgpr_private_segment_wavefront_offset 0
		.amdhsa_system_sgpr_workgroup_id_x 1
		.amdhsa_system_sgpr_workgroup_id_y 0
		.amdhsa_system_sgpr_workgroup_id_z 0
		.amdhsa_system_sgpr_workgroup_info 0
		.amdhsa_system_vgpr_workitem_id 0
		.amdhsa_next_free_vgpr 34
		.amdhsa_next_free_sgpr 17
		.amdhsa_reserve_vcc 1
		.amdhsa_reserve_flat_scratch 0
		.amdhsa_float_round_mode_32 0
		.amdhsa_float_round_mode_16_64 0
		.amdhsa_float_denorm_mode_32 3
		.amdhsa_float_denorm_mode_16_64 3
		.amdhsa_dx10_clamp 1
		.amdhsa_ieee_mode 1
		.amdhsa_fp16_overflow 0
		.amdhsa_workgroup_processor_mode 1
		.amdhsa_memory_ordered 1
		.amdhsa_forward_progress 1
		.amdhsa_shared_vgpr_count 0
		.amdhsa_exception_fp_ieee_invalid_op 0
		.amdhsa_exception_fp_denorm_src 0
		.amdhsa_exception_fp_ieee_div_zero 0
		.amdhsa_exception_fp_ieee_overflow 0
		.amdhsa_exception_fp_ieee_underflow 0
		.amdhsa_exception_fp_ieee_inexact 0
		.amdhsa_exception_int_div_zero 0
	.end_amdhsa_kernel
	.section	.text._Z30fast_hadamard_transform_kernelI37fast_hadamard_transform_kernel_traitsILi256ELi12E14__hip_bfloat16EEv18HadamardParamsBase,"axG",@progbits,_Z30fast_hadamard_transform_kernelI37fast_hadamard_transform_kernel_traitsILi256ELi12E14__hip_bfloat16EEv18HadamardParamsBase,comdat
.Lfunc_end35:
	.size	_Z30fast_hadamard_transform_kernelI37fast_hadamard_transform_kernel_traitsILi256ELi12E14__hip_bfloat16EEv18HadamardParamsBase, .Lfunc_end35-_Z30fast_hadamard_transform_kernelI37fast_hadamard_transform_kernel_traitsILi256ELi12E14__hip_bfloat16EEv18HadamardParamsBase
                                        ; -- End function
	.set _Z30fast_hadamard_transform_kernelI37fast_hadamard_transform_kernel_traitsILi256ELi12E14__hip_bfloat16EEv18HadamardParamsBase.num_vgpr, 34
	.set _Z30fast_hadamard_transform_kernelI37fast_hadamard_transform_kernel_traitsILi256ELi12E14__hip_bfloat16EEv18HadamardParamsBase.num_agpr, 0
	.set _Z30fast_hadamard_transform_kernelI37fast_hadamard_transform_kernel_traitsILi256ELi12E14__hip_bfloat16EEv18HadamardParamsBase.numbered_sgpr, 17
	.set _Z30fast_hadamard_transform_kernelI37fast_hadamard_transform_kernel_traitsILi256ELi12E14__hip_bfloat16EEv18HadamardParamsBase.num_named_barrier, 0
	.set _Z30fast_hadamard_transform_kernelI37fast_hadamard_transform_kernel_traitsILi256ELi12E14__hip_bfloat16EEv18HadamardParamsBase.private_seg_size, 0
	.set _Z30fast_hadamard_transform_kernelI37fast_hadamard_transform_kernel_traitsILi256ELi12E14__hip_bfloat16EEv18HadamardParamsBase.uses_vcc, 1
	.set _Z30fast_hadamard_transform_kernelI37fast_hadamard_transform_kernel_traitsILi256ELi12E14__hip_bfloat16EEv18HadamardParamsBase.uses_flat_scratch, 0
	.set _Z30fast_hadamard_transform_kernelI37fast_hadamard_transform_kernel_traitsILi256ELi12E14__hip_bfloat16EEv18HadamardParamsBase.has_dyn_sized_stack, 0
	.set _Z30fast_hadamard_transform_kernelI37fast_hadamard_transform_kernel_traitsILi256ELi12E14__hip_bfloat16EEv18HadamardParamsBase.has_recursion, 0
	.set _Z30fast_hadamard_transform_kernelI37fast_hadamard_transform_kernel_traitsILi256ELi12E14__hip_bfloat16EEv18HadamardParamsBase.has_indirect_call, 0
	.section	.AMDGPU.csdata,"",@progbits
; Kernel info:
; codeLenInByte = 4908
; TotalNumSgprs: 19
; NumVgprs: 34
; ScratchSize: 0
; MemoryBound: 0
; FloatMode: 240
; IeeeMode: 1
; LDSByteSize: 0 bytes/workgroup (compile time only)
; SGPRBlocks: 0
; VGPRBlocks: 4
; NumSGPRsForWavesPerEU: 19
; NumVGPRsForWavesPerEU: 34
; Occupancy: 16
; WaveLimiterHint : 0
; COMPUTE_PGM_RSRC2:SCRATCH_EN: 0
; COMPUTE_PGM_RSRC2:USER_SGPR: 6
; COMPUTE_PGM_RSRC2:TRAP_HANDLER: 0
; COMPUTE_PGM_RSRC2:TGID_X_EN: 1
; COMPUTE_PGM_RSRC2:TGID_Y_EN: 0
; COMPUTE_PGM_RSRC2:TGID_Z_EN: 0
; COMPUTE_PGM_RSRC2:TIDIG_COMP_CNT: 0
	.section	.text._Z30fast_hadamard_transform_kernelI37fast_hadamard_transform_kernel_traitsILi256ELi13E14__hip_bfloat16EEv18HadamardParamsBase,"axG",@progbits,_Z30fast_hadamard_transform_kernelI37fast_hadamard_transform_kernel_traitsILi256ELi13E14__hip_bfloat16EEv18HadamardParamsBase,comdat
	.protected	_Z30fast_hadamard_transform_kernelI37fast_hadamard_transform_kernel_traitsILi256ELi13E14__hip_bfloat16EEv18HadamardParamsBase ; -- Begin function _Z30fast_hadamard_transform_kernelI37fast_hadamard_transform_kernel_traitsILi256ELi13E14__hip_bfloat16EEv18HadamardParamsBase
	.globl	_Z30fast_hadamard_transform_kernelI37fast_hadamard_transform_kernel_traitsILi256ELi13E14__hip_bfloat16EEv18HadamardParamsBase
	.p2align	8
	.type	_Z30fast_hadamard_transform_kernelI37fast_hadamard_transform_kernel_traitsILi256ELi13E14__hip_bfloat16EEv18HadamardParamsBase,@function
_Z30fast_hadamard_transform_kernelI37fast_hadamard_transform_kernel_traitsILi256ELi13E14__hip_bfloat16EEv18HadamardParamsBase: ; @_Z30fast_hadamard_transform_kernelI37fast_hadamard_transform_kernel_traitsILi256ELi13E14__hip_bfloat16EEv18HadamardParamsBase
; %bb.0:
	s_clause 0x3
	s_load_dwordx4 s[12:15], s[4:5], 0x10
	s_load_dword s3, s[4:5], 0x4
	s_load_dwordx4 s[16:19], s[4:5], 0x28
	s_load_dword s0, s[4:5], 0x44
	s_ashr_i32 s11, s6, 31
	v_lshlrev_b32_e32 v9, 3, v0
	v_mov_b32_e32 v1, 0
	v_mov_b32_e32 v2, 0
	;; [unrolled: 1-line block ×8, first 2 shown]
	v_lshlrev_b32_e32 v35, 4, v0
	s_waitcnt lgkmcnt(0)
	s_mul_hi_u32 s1, s12, s6
	s_mul_i32 s2, s12, s11
	s_mul_i32 s7, s13, s6
	s_add_i32 s1, s1, s2
	s_mul_i32 s8, s12, s6
	s_add_i32 s9, s1, s7
	v_cmp_gt_u32_e64 s2, s3, v9
	s_lshl_b64 s[8:9], s[8:9], 1
	v_mov_b32_e32 v9, 0
	s_add_u32 s8, s16, s8
	s_addc_u32 s9, s17, s9
	s_and_saveexec_b32 s1, s2
	s_cbranch_execz .LBB36_2
; %bb.1:
	global_load_dwordx4 v[10:13], v35, s[8:9]
	s_waitcnt vmcnt(0)
	v_lshlrev_b32_e32 v9, 16, v10
	v_and_b32_e32 v8, 0xffff0000, v10
	v_lshlrev_b32_e32 v7, 16, v11
	v_and_b32_e32 v6, 0xffff0000, v11
	;; [unrolled: 2-line block ×4, first 2 shown]
.LBB36_2:
	s_or_b32 exec_lo, exec_lo, s1
	s_and_b32 s7, 0xffff, s0
	v_mov_b32_e32 v10, 0
	v_add_nc_u32_e32 v17, s7, v0
	v_mov_b32_e32 v11, 0
	v_mov_b32_e32 v12, 0
	;; [unrolled: 1-line block ×4, first 2 shown]
	v_lshlrev_b32_e32 v16, 3, v17
	v_mov_b32_e32 v15, 0
	v_lshlrev_b32_e32 v34, 4, v17
	v_cmp_gt_u32_e64 s1, s3, v16
	v_mov_b32_e32 v16, 0
	s_and_saveexec_b32 s0, s1
	s_cbranch_execz .LBB36_4
; %bb.3:
	global_load_dwordx4 v[18:21], v34, s[8:9]
	s_waitcnt vmcnt(0)
	v_lshlrev_b32_e32 v16, 16, v18
	v_and_b32_e32 v15, 0xffff0000, v18
	v_lshlrev_b32_e32 v14, 16, v19
	v_and_b32_e32 v13, 0xffff0000, v19
	;; [unrolled: 2-line block ×4, first 2 shown]
.LBB36_4:
	s_or_b32 exec_lo, exec_lo, s0
	v_add_nc_u32_e32 v26, s7, v17
	v_mov_b32_e32 v17, 0
	v_mov_b32_e32 v18, 0
	;; [unrolled: 1-line block ×4, first 2 shown]
	v_lshlrev_b32_e32 v24, 3, v26
	v_mov_b32_e32 v21, 0
	v_mov_b32_e32 v22, 0
	;; [unrolled: 1-line block ×3, first 2 shown]
	v_lshlrev_b32_e32 v33, 4, v26
	v_cmp_gt_u32_e64 s0, s3, v24
	v_mov_b32_e32 v24, 0
	v_mov_b32_e32 v25, 0
	s_and_saveexec_b32 s10, s0
	s_cbranch_execz .LBB36_6
; %bb.5:
	global_load_dwordx4 v[27:30], v33, s[8:9]
	s_waitcnt vmcnt(0)
	v_lshlrev_b32_e32 v25, 16, v27
	v_and_b32_e32 v24, 0xffff0000, v27
	v_lshlrev_b32_e32 v23, 16, v28
	v_and_b32_e32 v22, 0xffff0000, v28
	v_lshlrev_b32_e32 v21, 16, v29
	v_and_b32_e32 v20, 0xffff0000, v29
	v_lshlrev_b32_e32 v19, 16, v30
	v_and_b32_e32 v18, 0xffff0000, v30
.LBB36_6:
	s_or_b32 exec_lo, exec_lo, s10
	v_add_nc_u32_e32 v32, s7, v26
	v_mov_b32_e32 v26, 0
	v_mov_b32_e32 v27, 0
	;; [unrolled: 1-line block ×4, first 2 shown]
	v_lshlrev_b32_e32 v36, 3, v32
	v_mov_b32_e32 v30, 0
	v_mov_b32_e32 v31, 0
	v_lshlrev_b32_e32 v32, 4, v32
	v_cmp_gt_u32_e32 vcc_lo, s3, v36
	v_mov_b32_e32 v36, 0
	s_and_saveexec_b32 s3, vcc_lo
	s_cbranch_execz .LBB36_8
; %bb.7:
	global_load_dwordx4 v[37:40], v32, s[8:9]
	s_waitcnt vmcnt(0)
	v_lshlrev_b32_e32 v36, 16, v37
	v_and_b32_e32 v31, 0xffff0000, v37
	v_lshlrev_b32_e32 v30, 16, v38
	v_and_b32_e32 v29, 0xffff0000, v38
	;; [unrolled: 2-line block ×4, first 2 shown]
.LBB36_8:
	s_or_b32 exec_lo, exec_lo, s3
	v_add_f32_e32 v37, v8, v9
	v_sub_f32_e32 v8, v9, v8
	v_add_f32_e32 v9, v15, v16
	v_sub_f32_e32 v15, v16, v15
	;; [unrolled: 2-line block ×38, first 2 shown]
	v_mbcnt_lo_u32_b32 v4, -1, 0
	v_add_f32_e32 v38, v1, v15
	v_sub_f32_e32 v15, v15, v1
	v_add_f32_e32 v39, v20, v24
	v_sub_f32_e32 v20, v24, v20
	v_xor_b32_e32 v1, 1, v4
	v_add_f32_e32 v24, v28, v36
	v_sub_f32_e32 v28, v36, v28
	v_add_f32_e32 v36, v3, v7
	v_sub_f32_e32 v3, v7, v3
	v_cmp_gt_i32_e64 s3, 32, v1
	v_add_f32_e32 v7, v10, v14
	v_sub_f32_e32 v10, v14, v10
	v_add_f32_e32 v14, v19, v23
	v_sub_f32_e32 v19, v23, v19
	v_cndmask_b32_e64 v1, v4, v1, s3
	v_add_f32_e32 v23, v2, v6
	v_sub_f32_e32 v2, v6, v2
	v_add_f32_e32 v6, v11, v13
	v_sub_f32_e32 v11, v13, v11
	v_lshlrev_b32_e32 v1, 2, v1
	v_and_b32_e32 v13, 1, v0
	v_add_f32_e32 v45, v18, v22
	s_barrier
	ds_bpermute_b32 v40, v1, v27
	v_cmp_eq_u32_e64 s3, 0, v13
	ds_bpermute_b32 v41, v1, v16
	v_sub_f32_e32 v13, v22, v18
	v_add_f32_e32 v18, v17, v29
	v_sub_f32_e32 v17, v29, v17
	v_cndmask_b32_e64 v22, -v27, v27, s3
	ds_bpermute_b32 v27, v1, v21
	ds_bpermute_b32 v29, v1, v28
	;; [unrolled: 1-line block ×6, first 2 shown]
	v_cndmask_b32_e64 v16, -v16, v16, s3
	v_cndmask_b32_e64 v21, -v21, v21, s3
	;; [unrolled: 1-line block ×5, first 2 shown]
	ds_bpermute_b32 v43, v1, v23
	ds_bpermute_b32 v44, v1, v26
	s_waitcnt lgkmcnt(9)
	v_add_f32_e32 v22, v22, v40
	ds_bpermute_b32 v40, v1, v36
	v_cndmask_b32_e64 v24, -v24, v24, s3
	s_waitcnt lgkmcnt(9)
	v_add_f32_e32 v16, v16, v41
	v_cndmask_b32_e64 v25, -v25, v25, s3
	ds_bpermute_b32 v41, v1, v6
	v_cndmask_b32_e64 v23, -v23, v23, s3
	s_waitcnt lgkmcnt(9)
	v_add_f32_e32 v21, v21, v27
	s_waitcnt lgkmcnt(8)
	v_add_f32_e32 v27, v28, v29
	;; [unrolled: 2-line block ×4, first 2 shown]
	v_cndmask_b32_e64 v2, -v36, v36, s3
	ds_bpermute_b32 v31, v1, v11
	s_waitcnt lgkmcnt(6)
	v_add_f32_e32 v24, v24, v42
	ds_bpermute_b32 v42, v1, v30
	s_waitcnt lgkmcnt(6)
	v_add_f32_e32 v25, v25, v48
	ds_bpermute_b32 v36, v1, v37
	ds_bpermute_b32 v46, v1, v38
	;; [unrolled: 1-line block ×3, first 2 shown]
	v_cndmask_b32_e64 v26, -v26, v26, s3
	v_cndmask_b32_e64 v6, -v6, v6, s3
	s_waitcnt lgkmcnt(6)
	v_add_f32_e32 v40, v2, v40
	v_cndmask_b32_e64 v2, -v11, v11, s3
	v_cndmask_b32_e64 v11, -v37, v37, s3
	v_cndmask_b32_e64 v37, -v38, v38, s3
	ds_bpermute_b32 v38, v1, v5
	v_add_f32_e32 v23, v23, v43
	v_add_f32_e32 v26, v26, v44
	ds_bpermute_b32 v43, v1, v8
	ds_bpermute_b32 v44, v1, v3
	v_cndmask_b32_e64 v30, -v30, v30, s3
	s_waitcnt lgkmcnt(8)
	v_add_f32_e32 v6, v6, v41
	ds_bpermute_b32 v41, v1, v15
	v_cndmask_b32_e64 v45, -v45, v45, s3
	s_waitcnt lgkmcnt(8)
	v_add_f32_e32 v31, v2, v31
	v_cndmask_b32_e64 v2, -v5, v5, s3
	v_cndmask_b32_e64 v5, -v15, v15, s3
	ds_bpermute_b32 v15, v1, v39
	s_waitcnt lgkmcnt(8)
	v_add_f32_e32 v30, v30, v42
	ds_bpermute_b32 v42, v1, v10
	s_waitcnt lgkmcnt(8)
	v_add_f32_e32 v11, v11, v36
	s_waitcnt lgkmcnt(7)
	v_add_f32_e32 v36, v37, v46
	;; [unrolled: 2-line block ×3, first 2 shown]
	ds_bpermute_b32 v45, v1, v14
	v_cndmask_b32_e64 v8, -v8, v8, s3
	s_waitcnt lgkmcnt(6)
	v_add_f32_e32 v38, v2, v38
	v_cndmask_b32_e64 v2, -v39, v39, s3
	v_xor_b32_e32 v39, 2, v4
	v_cndmask_b32_e64 v3, -v3, v3, s3
	s_waitcnt lgkmcnt(5)
	v_add_f32_e32 v8, v8, v43
	ds_bpermute_b32 v43, v1, v13
	v_cndmask_b32_e64 v10, -v10, v10, s3
	v_cmp_gt_i32_e64 s7, 32, v39
	s_waitcnt lgkmcnt(5)
	v_add_f32_e32 v3, v3, v44
	ds_bpermute_b32 v44, v1, v9
	ds_bpermute_b32 v46, v1, v18
	v_cndmask_b32_e64 v14, -v14, v14, s3
	v_cndmask_b32_e64 v39, v4, v39, s7
	s_waitcnt lgkmcnt(5)
	v_add_f32_e32 v15, v2, v15
	v_add_f32_e32 v5, v5, v41
	s_waitcnt lgkmcnt(4)
	v_add_f32_e32 v10, v10, v42
	ds_bpermute_b32 v41, v1, v12
	v_lshlrev_b32_e32 v2, 2, v39
	ds_bpermute_b32 v42, v1, v20
	s_waitcnt lgkmcnt(5)
	v_add_f32_e32 v14, v14, v45
	v_and_b32_e32 v39, 2, v0
	v_cndmask_b32_e64 v13, -v13, v13, s3
	ds_bpermute_b32 v45, v2, v22
	ds_bpermute_b32 v49, v2, v26
	v_cndmask_b32_e64 v9, -v9, v9, s3
	v_cndmask_b32_e64 v18, -v18, v18, s3
	v_cmp_eq_u32_e64 s7, 0, v39
	s_waitcnt lgkmcnt(6)
	v_add_f32_e32 v13, v13, v43
	ds_bpermute_b32 v43, v1, v19
	s_waitcnt lgkmcnt(6)
	v_add_f32_e32 v9, v9, v44
	ds_bpermute_b32 v44, v1, v17
	s_waitcnt lgkmcnt(6)
	v_add_f32_e32 v18, v18, v46
	v_cndmask_b32_e64 v12, -v12, v12, s3
	v_cndmask_b32_e64 v20, -v20, v20, s3
	ds_bpermute_b32 v46, v2, v16
	v_cndmask_b32_e64 v22, -v22, v22, s7
	v_cndmask_b32_e64 v26, -v26, v26, s7
	ds_bpermute_b32 v39, v2, v21
	ds_bpermute_b32 v47, v1, v7
	s_waitcnt lgkmcnt(8)
	v_add_f32_e32 v12, v12, v41
	s_waitcnt lgkmcnt(7)
	v_add_f32_e32 v20, v20, v42
	ds_bpermute_b32 v41, v2, v27
	ds_bpermute_b32 v42, v2, v28
	s_waitcnt lgkmcnt(8)
	v_add_f32_e32 v22, v22, v45
	s_waitcnt lgkmcnt(7)
	v_add_f32_e32 v26, v26, v49
	ds_bpermute_b32 v45, v2, v40
	ds_bpermute_b32 v49, v2, v3
	v_cndmask_b32_e64 v19, -v19, v19, s3
	v_cndmask_b32_e64 v17, -v17, v17, s3
	;; [unrolled: 1-line block ×5, first 2 shown]
	ds_bpermute_b32 v48, v2, v23
	s_waitcnt lgkmcnt(9)
	v_add_f32_e32 v19, v19, v43
	s_waitcnt lgkmcnt(8)
	v_add_f32_e32 v17, v17, v44
	ds_bpermute_b32 v43, v2, v29
	ds_bpermute_b32 v44, v2, v25
	s_waitcnt lgkmcnt(9)
	v_add_f32_e32 v16, v16, v46
	v_cndmask_b32_e64 v27, -v27, v27, s7
	v_cndmask_b32_e64 v28, -v28, v28, s7
	ds_bpermute_b32 v46, v2, v6
	s_waitcnt lgkmcnt(9)
	v_add_f32_e32 v21, v21, v39
	v_cndmask_b32_e64 v39, -v40, v40, s7
	v_cndmask_b32_e64 v3, -v3, v3, s7
	ds_bpermute_b32 v40, v2, v31
	s_waitcnt lgkmcnt(9)
	v_add_f32_e32 v7, v7, v47
	ds_bpermute_b32 v47, v2, v24
	s_waitcnt lgkmcnt(9)
	v_add_f32_e32 v27, v27, v41
	s_waitcnt lgkmcnt(8)
	v_add_f32_e32 v28, v28, v42
	ds_bpermute_b32 v41, v2, v11
	ds_bpermute_b32 v42, v2, v36
	s_waitcnt lgkmcnt(9)
	v_add_f32_e32 v39, v39, v45
	s_waitcnt lgkmcnt(8)
	v_add_f32_e32 v45, v3, v49
	v_cndmask_b32_e64 v3, -v31, v31, s7
	v_cndmask_b32_e64 v31, -v36, v36, s7
	ds_bpermute_b32 v36, v2, v38
	v_cndmask_b32_e64 v23, -v23, v23, s7
	v_cndmask_b32_e64 v29, -v29, v29, s7
	;; [unrolled: 1-line block ×5, first 2 shown]
	s_waitcnt lgkmcnt(8)
	v_add_f32_e32 v23, v23, v48
	ds_bpermute_b32 v48, v2, v8
	s_waitcnt lgkmcnt(8)
	v_add_f32_e32 v29, v29, v43
	s_waitcnt lgkmcnt(7)
	v_add_f32_e32 v25, v25, v44
	ds_bpermute_b32 v43, v2, v7
	ds_bpermute_b32 v44, v2, v37
	s_waitcnt lgkmcnt(8)
	v_add_f32_e32 v6, v6, v46
	v_cndmask_b32_e64 v11, -v11, v11, s7
	ds_bpermute_b32 v46, v2, v5
	s_waitcnt lgkmcnt(8)
	v_add_f32_e32 v40, v3, v40
	v_cndmask_b32_e64 v3, -v38, v38, s7
	ds_bpermute_b32 v38, v2, v15
	s_waitcnt lgkmcnt(8)
	v_add_f32_e32 v24, v24, v47
	ds_bpermute_b32 v47, v2, v30
	s_waitcnt lgkmcnt(8)
	v_add_f32_e32 v11, v11, v41
	s_waitcnt lgkmcnt(7)
	v_add_f32_e32 v31, v31, v42
	ds_bpermute_b32 v41, v2, v14
	ds_bpermute_b32 v42, v2, v18
	s_waitcnt lgkmcnt(8)
	v_add_f32_e32 v36, v3, v36
	v_cndmask_b32_e64 v3, -v15, v15, s7
	v_cndmask_b32_e64 v15, -v18, v18, s7
	v_xor_b32_e32 v18, 4, v4
	v_cndmask_b32_e64 v8, -v8, v8, s7
	v_cndmask_b32_e64 v7, -v7, v7, s7
	;; [unrolled: 1-line block ×4, first 2 shown]
	v_cmp_gt_i32_e64 s8, 32, v18
	v_cndmask_b32_e64 v30, -v30, v30, s7
	s_waitcnt lgkmcnt(7)
	v_add_f32_e32 v8, v8, v48
	ds_bpermute_b32 v48, v2, v13
	s_waitcnt lgkmcnt(7)
	v_add_f32_e32 v7, v7, v43
	v_cndmask_b32_e64 v18, v4, v18, s8
	s_waitcnt lgkmcnt(6)
	v_add_f32_e32 v37, v37, v44
	s_waitcnt lgkmcnt(5)
	v_add_f32_e32 v5, v5, v46
	v_cndmask_b32_e64 v14, -v14, v14, s7
	ds_bpermute_b32 v43, v2, v12
	ds_bpermute_b32 v44, v2, v20
	;; [unrolled: 1-line block ×3, first 2 shown]
	s_waitcnt lgkmcnt(7)
	v_add_f32_e32 v38, v3, v38
	v_lshlrev_b32_e32 v3, 2, v18
	s_waitcnt lgkmcnt(6)
	v_add_f32_e32 v30, v30, v47
	ds_bpermute_b32 v47, v2, v10
	ds_bpermute_b32 v49, v2, v9
	s_waitcnt lgkmcnt(7)
	v_add_f32_e32 v14, v14, v41
	ds_bpermute_b32 v41, v3, v22
	v_cndmask_b32_e64 v18, -v20, v20, s7
	v_and_b32_e32 v20, 4, v0
	v_cndmask_b32_e64 v13, -v13, v13, s7
	v_cndmask_b32_e64 v12, -v12, v12, s7
	v_cndmask_b32_e64 v19, -v19, v19, s7
	v_cndmask_b32_e64 v10, -v10, v10, s7
	v_cmp_eq_u32_e64 s8, 0, v20
	v_cndmask_b32_e64 v9, -v9, v9, s7
	s_waitcnt lgkmcnt(6)
	v_add_f32_e32 v13, v13, v48
	ds_bpermute_b32 v48, v3, v24
	ds_bpermute_b32 v50, v3, v26
	s_waitcnt lgkmcnt(7)
	v_add_f32_e32 v12, v12, v43
	s_waitcnt lgkmcnt(6)
	v_add_f32_e32 v18, v18, v44
	;; [unrolled: 2-line block ×3, first 2 shown]
	v_cndmask_b32_e64 v20, -v22, v22, s8
	v_cndmask_b32_e64 v22, -v24, v24, s8
	;; [unrolled: 1-line block ×3, first 2 shown]
	ds_bpermute_b32 v26, v3, v21
	ds_bpermute_b32 v43, v3, v27
	ds_bpermute_b32 v44, v3, v28
	ds_bpermute_b32 v46, v3, v29
	s_waitcnt lgkmcnt(8)
	v_add_f32_e32 v10, v10, v47
	s_waitcnt lgkmcnt(7)
	v_add_f32_e32 v9, v9, v49
	ds_bpermute_b32 v47, v2, v17
	ds_bpermute_b32 v49, v3, v23
	s_waitcnt lgkmcnt(8)
	v_add_f32_e32 v20, v20, v41
	ds_bpermute_b32 v41, v3, v39
	v_add_f32_e32 v15, v15, v42
	ds_bpermute_b32 v42, v3, v16
	v_cndmask_b32_e64 v21, -v21, v21, s8
	v_cndmask_b32_e64 v27, -v27, v27, s8
	;; [unrolled: 1-line block ×7, first 2 shown]
	s_waitcnt lgkmcnt(9)
	v_add_f32_e32 v22, v22, v48
	s_waitcnt lgkmcnt(7)
	v_add_f32_e32 v21, v21, v26
	;; [unrolled: 2-line block ×5, first 2 shown]
	v_cndmask_b32_e64 v29, -v39, v39, s8
	v_add_f32_e32 v24, v24, v50
	s_waitcnt lgkmcnt(3)
	v_add_f32_e32 v17, v17, v47
	ds_bpermute_b32 v47, v3, v25
	s_waitcnt lgkmcnt(3)
	v_add_f32_e32 v23, v23, v49
	ds_bpermute_b32 v49, v3, v8
	;; [unrolled: 3-line block ×3, first 2 shown]
	ds_bpermute_b32 v48, v3, v30
	ds_bpermute_b32 v50, v3, v45
	v_cndmask_b32_e64 v39, -v45, v45, s8
	ds_bpermute_b32 v43, v3, v40
	ds_bpermute_b32 v44, v3, v11
	;; [unrolled: 1-line block ×3, first 2 shown]
	s_waitcnt lgkmcnt(8)
	v_add_f32_e32 v16, v16, v42
	ds_bpermute_b32 v42, v3, v6
	v_cndmask_b32_e64 v25, -v25, v25, s8
	v_cndmask_b32_e64 v8, -v8, v8, s8
	;; [unrolled: 1-line block ×4, first 2 shown]
	ds_bpermute_b32 v46, v3, v7
	v_cndmask_b32_e64 v40, -v40, v40, s8
	v_cndmask_b32_e64 v11, -v11, v11, s8
	s_waitcnt lgkmcnt(9)
	v_add_f32_e32 v25, v25, v47
	ds_bpermute_b32 v47, v3, v37
	s_waitcnt lgkmcnt(9)
	v_add_f32_e32 v8, v8, v49
	v_cndmask_b32_e64 v31, -v31, v31, s8
	ds_bpermute_b32 v49, v3, v13
	s_waitcnt lgkmcnt(9)
	v_add_f32_e32 v36, v36, v41
	v_xor_b32_e32 v41, 8, v4
	v_cndmask_b32_e64 v6, -v6, v6, s8
	s_waitcnt lgkmcnt(8)
	v_add_f32_e32 v30, v30, v48
	s_waitcnt lgkmcnt(7)
	v_add_f32_e32 v39, v39, v50
	ds_bpermute_b32 v48, v3, v10
	ds_bpermute_b32 v50, v3, v9
	s_waitcnt lgkmcnt(8)
	v_add_f32_e32 v40, v40, v43
	s_waitcnt lgkmcnt(7)
	v_add_f32_e32 v11, v11, v44
	;; [unrolled: 2-line block ×3, first 2 shown]
	ds_bpermute_b32 v43, v3, v38
	ds_bpermute_b32 v44, v3, v14
	;; [unrolled: 1-line block ×3, first 2 shown]
	v_cmp_gt_i32_e64 s9, 32, v41
	s_waitcnt lgkmcnt(8)
	v_add_f32_e32 v6, v6, v42
	ds_bpermute_b32 v42, v3, v5
	v_cndmask_b32_e64 v7, -v7, v7, s8
	v_cndmask_b32_e64 v37, -v37, v37, s8
	v_cndmask_b32_e64 v41, v4, v41, s9
	v_cndmask_b32_e64 v13, -v13, v13, s8
	v_cndmask_b32_e64 v10, -v10, v10, s8
	s_waitcnt lgkmcnt(8)
	v_add_f32_e32 v7, v7, v46
	s_waitcnt lgkmcnt(7)
	v_add_f32_e32 v37, v37, v47
	v_lshlrev_b32_e32 v41, 2, v41
	v_cndmask_b32_e64 v9, -v9, v9, s8
	s_waitcnt lgkmcnt(6)
	v_add_f32_e32 v13, v13, v49
	v_cndmask_b32_e64 v38, -v38, v38, s8
	v_cndmask_b32_e64 v14, -v14, v14, s8
	;; [unrolled: 1-line block ×3, first 2 shown]
	ds_bpermute_b32 v46, v3, v18
	ds_bpermute_b32 v47, v3, v19
	;; [unrolled: 1-line block ×4, first 2 shown]
	v_cndmask_b32_e64 v5, -v5, v5, s8
	s_waitcnt lgkmcnt(9)
	v_add_f32_e32 v10, v10, v48
	s_waitcnt lgkmcnt(8)
	v_add_f32_e32 v9, v9, v50
	ds_bpermute_b32 v48, v3, v17
	s_waitcnt lgkmcnt(8)
	v_add_f32_e32 v38, v38, v43
	s_waitcnt lgkmcnt(7)
	v_add_f32_e32 v14, v14, v44
	;; [unrolled: 2-line block ×3, first 2 shown]
	v_and_b32_e32 v43, 8, v0
	ds_bpermute_b32 v44, v41, v20
	ds_bpermute_b32 v45, v41, v16
	;; [unrolled: 1-line block ×3, first 2 shown]
	s_waitcnt lgkmcnt(8)
	v_add_f32_e32 v5, v5, v42
	ds_bpermute_b32 v42, v3, v12
	v_cmp_eq_u32_e64 s9, 0, v43
	v_cndmask_b32_e64 v18, -v18, v18, s8
	v_cndmask_b32_e64 v19, -v19, v19, s8
	v_cndmask_b32_e64 v17, -v17, v17, s8
	ds_bpermute_b32 v43, v41, v26
	v_cndmask_b32_e64 v22, -v22, v22, s9
	v_cndmask_b32_e64 v24, -v24, v24, s9
	s_waitcnt lgkmcnt(9)
	v_add_f32_e32 v18, v18, v46
	s_waitcnt lgkmcnt(8)
	v_add_f32_e32 v19, v19, v47
	v_cndmask_b32_e64 v20, -v20, v20, s9
	v_cndmask_b32_e64 v16, -v16, v16, s9
	;; [unrolled: 1-line block ×3, first 2 shown]
	ds_bpermute_b32 v46, v41, v27
	ds_bpermute_b32 v47, v41, v28
	s_waitcnt lgkmcnt(9)
	v_add_f32_e32 v22, v22, v49
	s_waitcnt lgkmcnt(8)
	v_add_f32_e32 v24, v24, v51
	ds_bpermute_b32 v49, v41, v30
	ds_bpermute_b32 v51, v41, v39
	v_cndmask_b32_e64 v12, -v12, v12, s8
	s_waitcnt lgkmcnt(9)
	v_add_f32_e32 v17, v17, v48
	ds_bpermute_b32 v48, v41, v25
	s_waitcnt lgkmcnt(9)
	v_add_f32_e32 v20, v20, v44
	s_waitcnt lgkmcnt(8)
	v_add_f32_e32 v16, v16, v45
	;; [unrolled: 2-line block ×3, first 2 shown]
	ds_bpermute_b32 v44, v41, v29
	ds_bpermute_b32 v45, v41, v6
	ds_bpermute_b32 v50, v41, v8
	s_waitcnt lgkmcnt(9)
	v_add_f32_e32 v12, v12, v42
	ds_bpermute_b32 v42, v41, v21
	v_cndmask_b32_e64 v26, -v26, v26, s9
	v_cndmask_b32_e64 v27, -v27, v27, s9
	;; [unrolled: 1-line block ×6, first 2 shown]
	s_waitcnt lgkmcnt(9)
	v_add_f32_e32 v26, v26, v43
	s_waitcnt lgkmcnt(8)
	v_add_f32_e32 v27, v27, v46
	;; [unrolled: 2-line block ×3, first 2 shown]
	v_cndmask_b32_e64 v29, -v29, v29, s9
	v_cndmask_b32_e64 v6, -v6, v6, s9
	v_cndmask_b32_e64 v8, -v8, v8, s9
	ds_bpermute_b32 v43, v41, v11
	ds_bpermute_b32 v46, v41, v31
	;; [unrolled: 1-line block ×3, first 2 shown]
	s_waitcnt lgkmcnt(9)
	v_add_f32_e32 v30, v30, v49
	s_waitcnt lgkmcnt(8)
	v_add_f32_e32 v39, v39, v51
	ds_bpermute_b32 v49, v41, v10
	ds_bpermute_b32 v51, v41, v9
	v_cndmask_b32_e64 v21, -v21, v21, s9
	s_waitcnt lgkmcnt(9)
	v_add_f32_e32 v25, v25, v48
	ds_bpermute_b32 v48, v41, v37
	s_waitcnt lgkmcnt(9)
	v_add_f32_e32 v29, v29, v44
	s_waitcnt lgkmcnt(8)
	v_add_f32_e32 v44, v6, v45
	;; [unrolled: 2-line block ×3, first 2 shown]
	ds_bpermute_b32 v50, v41, v13
	s_waitcnt lgkmcnt(7)
	v_add_f32_e32 v21, v21, v42
	ds_bpermute_b32 v42, v41, v40
	v_cndmask_b32_e64 v6, -v40, v40, s9
	v_cndmask_b32_e64 v8, -v11, v11, s9
	ds_bpermute_b32 v11, v41, v36
	ds_bpermute_b32 v40, v41, v5
	v_cndmask_b32_e64 v31, -v31, v31, s9
	v_cndmask_b32_e64 v7, -v7, v7, s9
	;; [unrolled: 1-line block ×5, first 2 shown]
	s_waitcnt lgkmcnt(9)
	v_add_f32_e32 v43, v8, v43
	s_waitcnt lgkmcnt(8)
	v_add_f32_e32 v31, v31, v46
	;; [unrolled: 2-line block ×3, first 2 shown]
	ds_bpermute_b32 v7, v41, v38
	ds_bpermute_b32 v8, v41, v14
	v_cndmask_b32_e64 v13, -v13, v13, s9
	s_waitcnt lgkmcnt(8)
	v_add_f32_e32 v47, v10, v49
	s_waitcnt lgkmcnt(7)
	v_add_f32_e32 v49, v9, v51
	v_xor_b32_e32 v9, 16, v4
	s_waitcnt lgkmcnt(6)
	v_add_f32_e32 v37, v37, v48
	s_waitcnt lgkmcnt(5)
	v_add_f32_e32 v48, v13, v50
	ds_bpermute_b32 v10, v41, v12
	ds_bpermute_b32 v13, v41, v18
	v_cmp_gt_i32_e64 s10, 32, v9
	s_waitcnt lgkmcnt(6)
	v_add_f32_e32 v42, v6, v42
	v_cndmask_b32_e64 v6, -v36, v36, s9
	v_cndmask_b32_e64 v5, -v5, v5, s9
	s_waitcnt lgkmcnt(0)
	buffer_gl0_inv
	v_cndmask_b32_e64 v4, v4, v9, s10
	ds_bpermute_b32 v9, v41, v17
	v_add_f32_e32 v36, v6, v11
	v_add_f32_e32 v40, v5, v40
	v_cndmask_b32_e64 v5, -v38, v38, s9
	ds_bpermute_b32 v6, v41, v15
	v_cndmask_b32_e64 v11, -v14, v14, s9
	ds_bpermute_b32 v14, v41, v19
	v_lshlrev_b32_e32 v51, 2, v4
	v_add_f32_e32 v38, v5, v7
	v_cndmask_b32_e64 v5, -v15, v15, s9
	v_add_f32_e32 v50, v11, v8
	v_cndmask_b32_e64 v7, -v12, v12, s9
	v_cndmask_b32_e64 v4, -v18, v18, s9
	;; [unrolled: 1-line block ×3, first 2 shown]
	ds_bpermute_b32 v12, v51, v20
	ds_bpermute_b32 v15, v51, v16
	;; [unrolled: 1-line block ×4, first 2 shown]
	v_and_b32_e32 v11, 16, v0
	v_add_f32_e32 v52, v7, v10
	v_add_f32_e32 v53, v4, v13
	ds_bpermute_b32 v10, v51, v24
	ds_bpermute_b32 v13, v51, v26
	v_cmp_eq_u32_e64 s10, 0, v11
	s_waitcnt lgkmcnt(7)
	v_add_f32_e32 v41, v5, v6
	v_cndmask_b32_e64 v4, -v17, v17, s9
	s_waitcnt lgkmcnt(6)
	v_add_f32_e32 v54, v8, v14
	ds_bpermute_b32 v11, v51, v21
	v_cndmask_b32_e64 v5, -v20, v20, s10
	v_cndmask_b32_e64 v6, -v16, v16, s10
	;; [unrolled: 1-line block ×4, first 2 shown]
	ds_bpermute_b32 v14, v51, v27
	ds_bpermute_b32 v16, v51, v28
	v_add_f32_e32 v55, v4, v9
	s_waitcnt lgkmcnt(8)
	v_add_f32_e32 v4, v5, v12
	s_waitcnt lgkmcnt(7)
	;; [unrolled: 2-line block ×4, first 2 shown]
	v_add_f32_e32 v7, v8, v19
	v_cndmask_b32_e64 v8, -v24, v24, s10
	v_cndmask_b32_e64 v9, -v21, v21, s10
	v_cndmask_b32_e64 v12, -v26, v26, s10
	ds_bpermute_b32 v18, v51, v25
	ds_bpermute_b32 v19, v51, v29
	;; [unrolled: 1-line block ×4, first 2 shown]
	s_waitcnt lgkmcnt(8)
	v_add_f32_e32 v8, v8, v10
	s_waitcnt lgkmcnt(7)
	v_add_f32_e32 v10, v12, v13
	v_cndmask_b32_e64 v13, -v25, v25, s10
	ds_bpermute_b32 v23, v51, v39
	ds_bpermute_b32 v24, v51, v42
	;; [unrolled: 1-line block ×3, first 2 shown]
	v_cndmask_b32_e64 v15, -v27, v27, s10
	v_cndmask_b32_e64 v17, -v28, v28, s10
	ds_bpermute_b32 v22, v51, v45
	s_waitcnt lgkmcnt(10)
	v_add_f32_e32 v9, v9, v11
	ds_bpermute_b32 v26, v51, v31
	s_waitcnt lgkmcnt(10)
	v_add_f32_e32 v11, v15, v14
	s_waitcnt lgkmcnt(9)
	v_add_f32_e32 v12, v17, v16
	v_cndmask_b32_e64 v14, -v29, v29, s10
	v_cndmask_b32_e64 v15, -v44, v44, s10
	;; [unrolled: 1-line block ×3, first 2 shown]
	ds_bpermute_b32 v27, v51, v46
	s_waitcnt lgkmcnt(9)
	v_add_f32_e32 v13, v13, v18
	s_waitcnt lgkmcnt(8)
	v_add_f32_e32 v14, v14, v19
	;; [unrolled: 2-line block ×4, first 2 shown]
	v_cndmask_b32_e64 v18, -v39, v39, s10
	v_cndmask_b32_e64 v19, -v42, v42, s10
	;; [unrolled: 1-line block ×4, first 2 shown]
	ds_bpermute_b32 v28, v51, v37
	ds_bpermute_b32 v29, v51, v36
	ds_bpermute_b32 v30, v51, v40
	ds_bpermute_b32 v31, v51, v47
	ds_bpermute_b32 v39, v51, v48
	v_cndmask_b32_e64 v17, -v45, v45, s10
	s_waitcnt lgkmcnt(10)
	v_add_f32_e32 v18, v18, v23
	s_waitcnt lgkmcnt(9)
	v_add_f32_e32 v19, v19, v24
	;; [unrolled: 2-line block ×3, first 2 shown]
	v_cndmask_b32_e64 v23, -v37, v37, s10
	v_cndmask_b32_e64 v24, -v36, v36, s10
	;; [unrolled: 1-line block ×3, first 2 shown]
	ds_bpermute_b32 v36, v51, v49
	ds_bpermute_b32 v37, v51, v38
	;; [unrolled: 1-line block ×5, first 2 shown]
	s_waitcnt lgkmcnt(12)
	v_add_f32_e32 v17, v17, v22
	v_cndmask_b32_e64 v22, -v46, v46, s10
	s_waitcnt lgkmcnt(11)
	v_add_f32_e32 v21, v21, v26
	v_cndmask_b32_e64 v26, -v47, v47, s10
	s_waitcnt lgkmcnt(9)
	v_add_f32_e32 v23, v23, v28
	s_waitcnt lgkmcnt(8)
	v_add_f32_e32 v24, v24, v29
	v_add_f32_e32 v22, v22, v27
	v_cndmask_b32_e64 v27, -v48, v48, s10
	s_waitcnt lgkmcnt(7)
	v_add_f32_e32 v25, v25, v30
	s_waitcnt lgkmcnt(6)
	v_add_f32_e32 v26, v26, v31
	v_cndmask_b32_e64 v28, -v49, v49, s10
	ds_bpermute_b32 v29, v51, v53
	s_waitcnt lgkmcnt(6)
	v_add_f32_e32 v27, v27, v39
	ds_bpermute_b32 v30, v51, v54
	ds_bpermute_b32 v31, v51, v55
	v_cndmask_b32_e64 v38, -v38, v38, s10
	v_cndmask_b32_e64 v39, -v50, v50, s10
	;; [unrolled: 1-line block ×4, first 2 shown]
	s_waitcnt lgkmcnt(7)
	v_add_f32_e32 v36, v28, v36
	s_waitcnt lgkmcnt(6)
	v_add_f32_e32 v37, v38, v37
	;; [unrolled: 2-line block ×5, first 2 shown]
	v_lshrrev_b32_e32 v28, 5, v0
	v_and_b32_e32 v44, 7, v0
	v_lshrrev_b32_e32 v41, 3, v0
	v_cndmask_b32_e64 v42, -v53, v53, s10
	v_cndmask_b32_e64 v43, -v54, v54, s10
	v_xor_b32_e32 v0, v28, v0
	v_cndmask_b32_e64 v45, -v55, v55, s10
	v_lshl_or_b32 v46, v44, 5, v41
	s_waitcnt lgkmcnt(2)
	v_add_f32_e32 v41, v42, v29
	s_waitcnt lgkmcnt(1)
	v_add_f32_e32 v42, v43, v30
	v_lshl_add_u32 v28, v0, 4, 0
	s_waitcnt lgkmcnt(0)
	v_add_f32_e32 v43, v45, v31
	v_xor_b32_e32 v0, v46, v44
	ds_write_b128 v28, v[4:7]
	ds_write_b128 v28, v[8:11] offset:4096
	ds_write_b128 v28, v[12:15] offset:8192
	;; [unrolled: 1-line block ×7, first 2 shown]
	v_lshl_add_u32 v0, v0, 4, 0
	s_waitcnt lgkmcnt(0)
	s_barrier
	buffer_gl0_inv
	ds_read_b128 v[4:7], v0
	ds_read_b128 v[8:11], v0 offset:4096
	ds_read_b128 v[12:15], v0 offset:8192
	;; [unrolled: 1-line block ×7, first 2 shown]
	s_waitcnt lgkmcnt(0)
	s_barrier
	buffer_gl0_inv
	ds_bpermute_b32 v29, v1, v4
	ds_bpermute_b32 v31, v1, v6
	;; [unrolled: 1-line block ×3, first 2 shown]
	v_cndmask_b32_e64 v4, -v4, v4, s3
	ds_bpermute_b32 v30, v1, v5
	ds_bpermute_b32 v46, v1, v9
	;; [unrolled: 1-line block ×3, first 2 shown]
	v_cndmask_b32_e64 v6, -v6, v6, s3
	v_cndmask_b32_e64 v7, -v7, v7, s3
	ds_bpermute_b32 v47, v1, v11
	ds_bpermute_b32 v48, v1, v12
	;; [unrolled: 1-line block ×4, first 2 shown]
	v_cndmask_b32_e64 v5, -v5, v5, s3
	v_cndmask_b32_e64 v9, -v9, v9, s3
	;; [unrolled: 1-line block ×7, first 2 shown]
	s_waitcnt lgkmcnt(9)
	v_add_f32_e32 v4, v4, v29
	ds_bpermute_b32 v29, v1, v10
	s_waitcnt lgkmcnt(9)
	v_add_f32_e32 v6, v6, v31
	s_waitcnt lgkmcnt(8)
	v_add_f32_e32 v7, v7, v44
	ds_bpermute_b32 v31, v1, v16
	ds_bpermute_b32 v44, v1, v17
	s_waitcnt lgkmcnt(9)
	v_add_f32_e32 v5, v5, v30
	s_waitcnt lgkmcnt(8)
	v_add_f32_e32 v9, v9, v46
	v_cndmask_b32_e64 v10, -v10, v10, s3
	ds_bpermute_b32 v30, v1, v15
	ds_bpermute_b32 v46, v1, v19
	s_waitcnt lgkmcnt(9)
	v_add_f32_e32 v8, v8, v45
	ds_bpermute_b32 v45, v1, v18
	s_waitcnt lgkmcnt(9)
	v_add_f32_e32 v11, v11, v47
	s_waitcnt lgkmcnt(8)
	v_add_f32_e32 v12, v12, v48
	;; [unrolled: 2-line block ×4, first 2 shown]
	v_cndmask_b32_e64 v16, -v16, v16, s3
	v_cndmask_b32_e64 v17, -v17, v17, s3
	ds_bpermute_b32 v47, v1, v21
	ds_bpermute_b32 v48, v1, v22
	s_waitcnt lgkmcnt(7)
	v_add_f32_e32 v10, v10, v29
	ds_bpermute_b32 v29, v1, v20
	ds_bpermute_b32 v49, v1, v23
	;; [unrolled: 1-line block ×3, first 2 shown]
	s_waitcnt lgkmcnt(9)
	v_add_f32_e32 v16, v16, v31
	s_waitcnt lgkmcnt(8)
	v_add_f32_e32 v17, v17, v44
	ds_bpermute_b32 v31, v1, v26
	ds_bpermute_b32 v44, v1, v27
	v_cndmask_b32_e64 v15, -v15, v15, s3
	v_cndmask_b32_e64 v19, -v19, v19, s3
	v_cndmask_b32_e64 v18, -v18, v18, s3
	v_cndmask_b32_e64 v20, -v20, v20, s3
	v_cndmask_b32_e64 v21, -v21, v21, s3
	s_waitcnt lgkmcnt(9)
	v_add_f32_e32 v15, v15, v30
	s_waitcnt lgkmcnt(8)
	v_add_f32_e32 v19, v19, v46
	v_cndmask_b32_e64 v22, -v22, v22, s3
	v_cndmask_b32_e64 v23, -v23, v23, s3
	;; [unrolled: 1-line block ×3, first 2 shown]
	ds_bpermute_b32 v30, v1, v25
	ds_bpermute_b32 v46, v1, v37
	s_waitcnt lgkmcnt(9)
	v_add_f32_e32 v18, v18, v45
	ds_bpermute_b32 v45, v1, v36
	s_waitcnt lgkmcnt(7)
	v_add_f32_e32 v20, v20, v29
	v_add_f32_e32 v21, v21, v47
	;; [unrolled: 1-line block ×3, first 2 shown]
	s_waitcnt lgkmcnt(6)
	v_add_f32_e32 v23, v23, v49
	s_waitcnt lgkmcnt(5)
	v_add_f32_e32 v24, v24, v50
	v_cndmask_b32_e64 v26, -v26, v26, s3
	v_cndmask_b32_e64 v27, -v27, v27, s3
	;; [unrolled: 1-line block ×4, first 2 shown]
	ds_bpermute_b32 v37, v1, v38
	ds_bpermute_b32 v47, v1, v39
	;; [unrolled: 1-line block ×5, first 2 shown]
	s_waitcnt lgkmcnt(9)
	v_add_f32_e32 v26, v26, v31
	s_waitcnt lgkmcnt(8)
	v_add_f32_e32 v27, v27, v44
	v_cndmask_b32_e64 v31, -v38, v38, s3
	v_cndmask_b32_e64 v38, -v40, v40, s3
	;; [unrolled: 1-line block ×3, first 2 shown]
	ds_bpermute_b32 v1, v1, v43
	ds_bpermute_b32 v42, v2, v5
	;; [unrolled: 1-line block ×3, first 2 shown]
	v_cndmask_b32_e64 v25, -v25, v25, s3
	v_cndmask_b32_e64 v5, -v5, v5, s7
	;; [unrolled: 1-line block ×3, first 2 shown]
	s_waitcnt lgkmcnt(8)
	v_add_f32_e32 v29, v29, v45
	ds_bpermute_b32 v45, v2, v7
	v_add_f32_e32 v25, v25, v30
	v_add_f32_e32 v30, v36, v46
	v_cndmask_b32_e64 v36, -v39, v39, s3
	v_cndmask_b32_e64 v39, -v41, v41, s3
	ds_bpermute_b32 v41, v2, v4
	s_waitcnt lgkmcnt(9)
	v_add_f32_e32 v31, v31, v37
	s_waitcnt lgkmcnt(7)
	v_add_f32_e32 v37, v38, v48
	v_add_f32_e32 v36, v36, v47
	s_waitcnt lgkmcnt(6)
	v_add_f32_e32 v38, v39, v49
	s_waitcnt lgkmcnt(5)
	v_add_f32_e32 v39, v40, v50
	v_cndmask_b32_e64 v40, -v43, v43, s3
	ds_bpermute_b32 v43, v2, v8
	ds_bpermute_b32 v46, v2, v9
	ds_bpermute_b32 v47, v2, v10
	ds_bpermute_b32 v48, v2, v11
	ds_bpermute_b32 v49, v2, v12
	s_waitcnt lgkmcnt(9)
	v_add_f32_e32 v1, v40, v1
	s_waitcnt lgkmcnt(8)
	v_add_f32_e32 v5, v5, v42
	;; [unrolled: 2-line block ×3, first 2 shown]
	ds_bpermute_b32 v40, v2, v13
	ds_bpermute_b32 v42, v2, v15
	;; [unrolled: 1-line block ×3, first 2 shown]
	v_cndmask_b32_e64 v4, -v4, v4, s7
	v_cndmask_b32_e64 v8, -v8, v8, s7
	;; [unrolled: 1-line block ×5, first 2 shown]
	s_waitcnt lgkmcnt(8)
	v_add_f32_e32 v4, v4, v41
	ds_bpermute_b32 v41, v2, v14
	v_cndmask_b32_e64 v7, -v7, v7, s7
	v_cndmask_b32_e64 v12, -v12, v12, s7
	s_waitcnt lgkmcnt(8)
	v_add_f32_e32 v8, v8, v43
	s_waitcnt lgkmcnt(7)
	v_add_f32_e32 v9, v9, v46
	;; [unrolled: 2-line block ×4, first 2 shown]
	v_cndmask_b32_e64 v13, -v13, v13, s7
	v_cndmask_b32_e64 v15, -v15, v15, s7
	;; [unrolled: 1-line block ×3, first 2 shown]
	ds_bpermute_b32 v43, v2, v18
	ds_bpermute_b32 v46, v2, v19
	;; [unrolled: 1-line block ×4, first 2 shown]
	v_add_f32_e32 v7, v7, v45
	ds_bpermute_b32 v45, v2, v17
	s_waitcnt lgkmcnt(9)
	v_add_f32_e32 v12, v12, v49
	ds_bpermute_b32 v49, v2, v22
	s_waitcnt lgkmcnt(9)
	v_add_f32_e32 v13, v13, v40
	s_waitcnt lgkmcnt(8)
	v_add_f32_e32 v15, v15, v42
	;; [unrolled: 2-line block ×3, first 2 shown]
	ds_bpermute_b32 v40, v2, v23
	ds_bpermute_b32 v42, v2, v25
	;; [unrolled: 1-line block ×3, first 2 shown]
	v_cndmask_b32_e64 v14, -v14, v14, s7
	v_cndmask_b32_e64 v18, -v18, v18, s7
	;; [unrolled: 1-line block ×5, first 2 shown]
	s_waitcnt lgkmcnt(9)
	v_add_f32_e32 v14, v14, v41
	ds_bpermute_b32 v41, v2, v24
	v_cndmask_b32_e64 v17, -v17, v17, s7
	v_cndmask_b32_e64 v22, -v22, v22, s7
	s_waitcnt lgkmcnt(9)
	v_add_f32_e32 v18, v18, v43
	s_waitcnt lgkmcnt(8)
	v_add_f32_e32 v19, v19, v46
	s_waitcnt lgkmcnt(7)
	v_add_f32_e32 v20, v20, v47
	s_waitcnt lgkmcnt(6)
	v_add_f32_e32 v21, v21, v48
	v_cndmask_b32_e64 v23, -v23, v23, s7
	v_cndmask_b32_e64 v25, -v25, v25, s7
	;; [unrolled: 1-line block ×3, first 2 shown]
	ds_bpermute_b32 v43, v2, v29
	ds_bpermute_b32 v46, v2, v30
	;; [unrolled: 1-line block ×4, first 2 shown]
	s_waitcnt lgkmcnt(9)
	v_add_f32_e32 v17, v17, v45
	ds_bpermute_b32 v45, v2, v27
	s_waitcnt lgkmcnt(9)
	v_add_f32_e32 v22, v22, v49
	ds_bpermute_b32 v49, v2, v37
	s_waitcnt lgkmcnt(9)
	v_add_f32_e32 v23, v23, v40
	s_waitcnt lgkmcnt(8)
	v_add_f32_e32 v25, v25, v42
	s_waitcnt lgkmcnt(7)
	v_add_f32_e32 v26, v26, v44
	ds_bpermute_b32 v40, v2, v38
	ds_bpermute_b32 v42, v3, v4
	;; [unrolled: 1-line block ×3, first 2 shown]
	v_cndmask_b32_e64 v24, -v24, v24, s7
	v_cndmask_b32_e64 v29, -v29, v29, s7
	;; [unrolled: 1-line block ×5, first 2 shown]
	s_waitcnt lgkmcnt(9)
	v_add_f32_e32 v24, v24, v41
	ds_bpermute_b32 v41, v2, v39
	ds_bpermute_b32 v2, v2, v1
	v_cndmask_b32_e64 v27, -v27, v27, s7
	v_cndmask_b32_e64 v37, -v37, v37, s7
	s_waitcnt lgkmcnt(10)
	v_add_f32_e32 v29, v29, v43
	s_waitcnt lgkmcnt(9)
	v_add_f32_e32 v30, v30, v46
	;; [unrolled: 2-line block ×4, first 2 shown]
	v_cndmask_b32_e64 v36, -v38, v38, s7
	v_cndmask_b32_e64 v4, -v4, v4, s8
	;; [unrolled: 1-line block ×3, first 2 shown]
	ds_bpermute_b32 v38, v3, v6
	ds_bpermute_b32 v46, v3, v8
	ds_bpermute_b32 v47, v3, v9
	ds_bpermute_b32 v48, v3, v10
	s_waitcnt lgkmcnt(10)
	v_add_f32_e32 v27, v27, v45
	s_waitcnt lgkmcnt(9)
	v_add_f32_e32 v45, v37, v49
	v_cndmask_b32_e64 v37, -v39, v39, s7
	ds_bpermute_b32 v39, v3, v7
	s_waitcnt lgkmcnt(9)
	v_add_f32_e32 v40, v36, v40
	s_waitcnt lgkmcnt(8)
	v_add_f32_e32 v4, v4, v42
	;; [unrolled: 2-line block ×3, first 2 shown]
	ds_bpermute_b32 v36, v3, v11
	ds_bpermute_b32 v42, v3, v13
	;; [unrolled: 1-line block ×4, first 2 shown]
	v_cndmask_b32_e64 v1, -v1, v1, s7
	v_cndmask_b32_e64 v8, -v8, v8, s8
	;; [unrolled: 1-line block ×5, first 2 shown]
	s_waitcnt lgkmcnt(9)
	v_add_f32_e32 v1, v1, v2
	v_cndmask_b32_e64 v2, -v6, v6, s8
	v_add_f32_e32 v41, v37, v41
	ds_bpermute_b32 v37, v3, v12
	s_waitcnt lgkmcnt(8)
	v_add_f32_e32 v8, v8, v46
	s_waitcnt lgkmcnt(7)
	v_add_f32_e32 v9, v9, v47
	v_add_f32_e32 v6, v2, v38
	s_waitcnt lgkmcnt(6)
	v_add_f32_e32 v10, v10, v48
	v_cndmask_b32_e64 v2, -v11, v11, s8
	v_cndmask_b32_e64 v13, -v13, v13, s8
	;; [unrolled: 1-line block ×4, first 2 shown]
	ds_bpermute_b32 v38, v3, v16
	ds_bpermute_b32 v46, v3, v18
	;; [unrolled: 1-line block ×4, first 2 shown]
	s_waitcnt lgkmcnt(9)
	v_add_f32_e32 v7, v7, v39
	ds_bpermute_b32 v39, v3, v17
	s_waitcnt lgkmcnt(9)
	v_add_f32_e32 v11, v2, v36
	s_waitcnt lgkmcnt(8)
	v_add_f32_e32 v13, v13, v42
	s_waitcnt lgkmcnt(7)
	v_add_f32_e32 v14, v14, v44
	s_waitcnt lgkmcnt(6)
	v_add_f32_e32 v15, v15, v49
	ds_bpermute_b32 v36, v3, v21
	ds_bpermute_b32 v42, v3, v23
	;; [unrolled: 1-line block ×4, first 2 shown]
	v_cndmask_b32_e64 v12, -v12, v12, s8
	v_cndmask_b32_e64 v2, -v16, v16, s8
	;; [unrolled: 1-line block ×6, first 2 shown]
	s_waitcnt lgkmcnt(9)
	v_add_f32_e32 v12, v12, v37
	ds_bpermute_b32 v37, v3, v22
	s_waitcnt lgkmcnt(9)
	v_add_f32_e32 v16, v2, v38
	s_waitcnt lgkmcnt(8)
	v_add_f32_e32 v18, v18, v46
	;; [unrolled: 2-line block ×4, first 2 shown]
	v_cndmask_b32_e64 v2, -v21, v21, s8
	v_cndmask_b32_e64 v23, -v23, v23, s8
	v_cndmask_b32_e64 v24, -v24, v24, s8
	v_cndmask_b32_e64 v25, -v25, v25, s8
	ds_bpermute_b32 v38, v3, v26
	ds_bpermute_b32 v46, v3, v29
	ds_bpermute_b32 v47, v3, v30
	ds_bpermute_b32 v48, v3, v31
	s_waitcnt lgkmcnt(9)
	v_add_f32_e32 v17, v17, v39
	ds_bpermute_b32 v39, v3, v27
	s_waitcnt lgkmcnt(9)
	v_add_f32_e32 v21, v2, v36
	s_waitcnt lgkmcnt(8)
	v_add_f32_e32 v23, v23, v42
	s_waitcnt lgkmcnt(7)
	v_add_f32_e32 v24, v24, v44
	s_waitcnt lgkmcnt(6)
	v_add_f32_e32 v25, v25, v49
	ds_bpermute_b32 v2, v3, v43
	ds_bpermute_b32 v42, v3, v45
	;; [unrolled: 1-line block ×5, first 2 shown]
	v_cndmask_b32_e64 v22, -v22, v22, s8
	v_cndmask_b32_e64 v26, -v26, v26, s8
	;; [unrolled: 1-line block ×6, first 2 shown]
	s_waitcnt lgkmcnt(10)
	v_add_f32_e32 v22, v22, v37
	s_waitcnt lgkmcnt(9)
	v_add_f32_e32 v26, v26, v38
	;; [unrolled: 2-line block ×5, first 2 shown]
	v_cndmask_b32_e64 v29, -v43, v43, s8
	v_cndmask_b32_e64 v30, -v45, v45, s8
	;; [unrolled: 1-line block ×5, first 2 shown]
	s_waitcnt lgkmcnt(5)
	v_add_f32_e32 v27, v27, v39
	s_waitcnt lgkmcnt(4)
	v_add_f32_e32 v39, v29, v2
	;; [unrolled: 2-line block ×6, first 2 shown]
	ds_write_b128 v0, v[4:7]
	ds_write_b128 v0, v[8:11] offset:4096
	ds_write_b128 v0, v[12:15] offset:8192
	;; [unrolled: 1-line block ×7, first 2 shown]
	s_waitcnt lgkmcnt(0)
	s_barrier
	buffer_gl0_inv
	ds_read_b128 v[0:3], v28
	ds_read_b128 v[8:11], v28 offset:8192
	ds_read_b128 v[4:7], v28 offset:16384
	;; [unrolled: 1-line block ×7, first 2 shown]
	s_mul_i32 s3, s14, s11
	s_mul_hi_u32 s7, s14, s6
	s_add_i32 s3, s7, s3
	s_mul_i32 s7, s15, s6
	s_mul_i32 s6, s14, s6
	s_add_i32 s7, s3, s7
	s_load_dword s3, s[4:5], 0x20
	s_lshl_b64 s[4:5], s[6:7], 1
	s_add_u32 s4, s18, s4
	s_addc_u32 s5, s19, s5
	s_waitcnt lgkmcnt(0)
	v_add_f32_e32 v48, v0, v8
	v_add_f32_e32 v49, v1, v9
	;; [unrolled: 1-line block ×16, first 2 shown]
	s_and_saveexec_b32 s6, s2
	s_cbranch_execz .LBB36_10
; %bb.9:
	v_add_f32_e32 v52, v37, v39
	v_add_f32_e32 v53, v36, v38
	;; [unrolled: 1-line block ×5, first 2 shown]
	v_mul_f32_e32 v52, s3, v52
	v_mul_f32_e32 v53, s3, v53
	;; [unrolled: 1-line block ×4, first 2 shown]
	v_add_f32_e32 v57, v44, v46
	v_bfe_u32 v60, v52, 16, 1
	v_or_b32_e32 v61, 0x400000, v52
	v_cmp_u_f32_e64 s2, v52, v52
	v_add_f32_e32 v58, v49, v51
	v_add_f32_e32 v59, v48, v50
	v_add3_u32 v60, v60, v52, 0x7fff
	v_cndmask_b32_e64 v52, v60, v61, s2
	v_bfe_u32 v60, v53, 16, 1
	v_or_b32_e32 v61, 0x400000, v53
	v_cmp_u_f32_e64 s2, v53, v53
	v_add3_u32 v60, v60, v53, 0x7fff
	v_cndmask_b32_e64 v53, v60, v61, s2
	v_bfe_u32 v60, v54, 16, 1
	v_or_b32_e32 v61, 0x400000, v54
	v_cmp_u_f32_e64 s2, v54, v54
	;; [unrolled: 5-line block ×3, first 2 shown]
	v_add3_u32 v60, v60, v55, 0x7fff
	v_mul_f32_e32 v55, s3, v56
	v_cndmask_b32_e64 v60, v60, v61, s2
	v_bfe_u32 v56, v55, 16, 1
	v_or_b32_e32 v61, 0x400000, v55
	v_cmp_u_f32_e64 s2, v55, v55
	v_perm_b32 v54, v54, v60, 0x7060302
	v_add3_u32 v56, v56, v55, 0x7fff
	v_mul_f32_e32 v55, s3, v57
	v_cndmask_b32_e64 v56, v56, v61, s2
	v_bfe_u32 v57, v55, 16, 1
	v_or_b32_e32 v61, 0x400000, v55
	v_cmp_u_f32_e64 s2, v55, v55
	v_add3_u32 v57, v57, v55, 0x7fff
	v_mul_f32_e32 v55, s3, v58
	v_cndmask_b32_e64 v57, v57, v61, s2
	v_bfe_u32 v58, v55, 16, 1
	v_or_b32_e32 v61, 0x400000, v55
	v_cmp_u_f32_e64 s2, v55, v55
	;; [unrolled: 6-line block ×3, first 2 shown]
	v_add3_u32 v59, v59, v55, 0x7fff
	v_perm_b32 v55, v52, v53, 0x7060302
	v_perm_b32 v53, v56, v57, 0x7060302
	v_cndmask_b32_e64 v59, v59, v61, s2
	v_perm_b32 v52, v58, v59, 0x7060302
	global_store_dwordx4 v35, v[52:55], s[4:5]
.LBB36_10:
	s_or_b32 exec_lo, exec_lo, s6
	v_sub_f32_e32 v35, v1, v9
	v_sub_f32_e32 v52, v0, v8
	;; [unrolled: 1-line block ×16, first 2 shown]
	s_and_saveexec_b32 s2, s1
	s_cbranch_execnz .LBB36_14
; %bb.11:
	s_or_b32 exec_lo, exec_lo, s2
	s_and_saveexec_b32 s1, s0
	s_cbranch_execnz .LBB36_15
.LBB36_12:
	s_or_b32 exec_lo, exec_lo, s1
	s_and_saveexec_b32 s0, vcc_lo
	s_cbranch_execnz .LBB36_16
.LBB36_13:
	s_endpgm
.LBB36_14:
	v_add_f32_e32 v14, v52, v12
	v_add_f32_e32 v16, v9, v11
	;; [unrolled: 1-line block ×5, first 2 shown]
	v_mul_f32_e32 v14, s3, v14
	v_mul_f32_e32 v16, s3, v16
	;; [unrolled: 1-line block ×4, first 2 shown]
	v_add_f32_e32 v15, v35, v13
	v_bfe_u32 v19, v14, 16, 1
	v_or_b32_e32 v20, 0x400000, v14
	v_bfe_u32 v23, v16, 16, 1
	v_cmp_u_f32_e64 s1, v14, v14
	v_or_b32_e32 v24, 0x400000, v16
	v_add3_u32 v19, v19, v14, 0x7fff
	v_bfe_u32 v25, v17, 16, 1
	v_add3_u32 v23, v23, v16, 0x7fff
	v_mul_f32_e32 v15, s3, v15
	v_cndmask_b32_e64 v14, v19, v20, s1
	v_cmp_u_f32_e64 s1, v16, v16
	v_add3_u32 v16, v25, v17, 0x7fff
	v_or_b32_e32 v20, 0x400000, v17
	v_add_f32_e32 v25, v1, v3
	v_bfe_u32 v21, v15, 16, 1
	v_cndmask_b32_e64 v19, v23, v24, s1
	v_add_f32_e32 v23, v4, v5
	v_cmp_u_f32_e64 s1, v17, v17
	v_bfe_u32 v24, v18, 16, 1
	v_mul_f32_e32 v17, s3, v25
	v_or_b32_e32 v25, 0x400000, v18
	v_or_b32_e32 v22, 0x400000, v15
	v_cndmask_b32_e64 v20, v16, v20, s1
	v_mul_f32_e32 v16, s3, v23
	v_mul_f32_e32 v23, s3, v26
	v_add3_u32 v24, v24, v18, 0x7fff
	v_bfe_u32 v27, v17, 16, 1
	v_cmp_u_f32_e64 s1, v18, v18
	v_bfe_u32 v26, v16, 16, 1
	v_bfe_u32 v28, v23, 16, 1
	v_or_b32_e32 v29, 0x400000, v16
	v_add3_u32 v21, v21, v15, 0x7fff
	v_cndmask_b32_e64 v18, v24, v25, s1
	v_add3_u32 v24, v26, v16, 0x7fff
	v_add3_u32 v25, v27, v17, 0x7fff
	v_or_b32_e32 v26, 0x400000, v17
	v_cmp_u_f32_e64 s1, v17, v17
	v_add3_u32 v27, v28, v23, 0x7fff
	v_or_b32_e32 v28, 0x400000, v23
	v_cndmask_b32_e64 v17, v25, v26, s1
	v_cmp_u_f32_e64 s1, v23, v23
	v_cndmask_b32_e64 v23, v27, v28, s1
	v_cmp_u_f32_e64 s1, v16, v16
	v_perm_b32 v17, v23, v17, 0x7060302
	v_cndmask_b32_e64 v16, v24, v29, s1
	v_cmp_u_f32_e64 s1, v15, v15
	v_perm_b32 v15, v20, v19, 0x7060302
	v_perm_b32 v16, v16, v18, 0x7060302
	v_cndmask_b32_e64 v21, v21, v22, s1
	v_perm_b32 v14, v21, v14, 0x7060302
	global_store_dwordx4 v34, v[14:17], s[4:5]
	s_or_b32 exec_lo, exec_lo, s2
	s_and_saveexec_b32 s1, s0
	s_cbranch_execz .LBB36_12
.LBB36_15:
	v_sub_f32_e32 v14, v48, v50
	v_sub_f32_e32 v16, v44, v46
	;; [unrolled: 1-line block ×5, first 2 shown]
	v_mul_f32_e32 v14, s3, v14
	v_mul_f32_e32 v16, s3, v16
	;; [unrolled: 1-line block ×4, first 2 shown]
	v_sub_f32_e32 v15, v49, v51
	v_bfe_u32 v19, v14, 16, 1
	v_or_b32_e32 v20, 0x400000, v14
	v_bfe_u32 v23, v16, 16, 1
	v_cmp_u_f32_e64 s0, v14, v14
	v_or_b32_e32 v24, 0x400000, v16
	v_add3_u32 v19, v19, v14, 0x7fff
	v_bfe_u32 v25, v17, 16, 1
	v_add3_u32 v23, v23, v16, 0x7fff
	v_mul_f32_e32 v15, s3, v15
	v_cndmask_b32_e64 v14, v19, v20, s0
	v_cmp_u_f32_e64 s0, v16, v16
	v_add3_u32 v16, v25, v17, 0x7fff
	v_or_b32_e32 v20, 0x400000, v17
	v_sub_f32_e32 v25, v36, v38
	v_bfe_u32 v21, v15, 16, 1
	v_cndmask_b32_e64 v19, v23, v24, s0
	v_sub_f32_e32 v23, v40, v41
	v_cmp_u_f32_e64 s0, v17, v17
	v_bfe_u32 v24, v18, 16, 1
	v_mul_f32_e32 v17, s3, v25
	v_or_b32_e32 v25, 0x400000, v18
	v_or_b32_e32 v22, 0x400000, v15
	v_cndmask_b32_e64 v20, v16, v20, s0
	v_mul_f32_e32 v16, s3, v23
	v_mul_f32_e32 v23, s3, v26
	v_add3_u32 v24, v24, v18, 0x7fff
	v_bfe_u32 v27, v17, 16, 1
	v_cmp_u_f32_e64 s0, v18, v18
	v_bfe_u32 v26, v16, 16, 1
	v_bfe_u32 v28, v23, 16, 1
	v_or_b32_e32 v29, 0x400000, v16
	v_add3_u32 v21, v21, v15, 0x7fff
	v_cndmask_b32_e64 v18, v24, v25, s0
	v_add3_u32 v24, v26, v16, 0x7fff
	v_add3_u32 v25, v27, v17, 0x7fff
	v_or_b32_e32 v26, 0x400000, v17
	v_cmp_u_f32_e64 s0, v17, v17
	v_add3_u32 v27, v28, v23, 0x7fff
	v_or_b32_e32 v28, 0x400000, v23
	v_cndmask_b32_e64 v17, v25, v26, s0
	v_cmp_u_f32_e64 s0, v23, v23
	v_cndmask_b32_e64 v23, v27, v28, s0
	v_cmp_u_f32_e64 s0, v16, v16
	v_perm_b32 v17, v23, v17, 0x7060302
	v_cndmask_b32_e64 v16, v24, v29, s0
	v_cmp_u_f32_e64 s0, v15, v15
	v_perm_b32 v15, v20, v19, 0x7060302
	v_perm_b32 v16, v16, v18, 0x7060302
	v_cndmask_b32_e64 v21, v21, v22, s0
	v_perm_b32 v14, v21, v14, 0x7060302
	global_store_dwordx4 v33, v[14:17], s[4:5]
	s_or_b32 exec_lo, exec_lo, s1
	s_and_saveexec_b32 s0, vcc_lo
	s_cbranch_execz .LBB36_13
.LBB36_16:
	v_sub_f32_e32 v12, v52, v12
	v_sub_f32_e32 v8, v8, v10
	;; [unrolled: 1-line block ×5, first 2 shown]
	v_mul_f32_e32 v10, s3, v12
	v_mul_f32_e32 v8, s3, v8
	;; [unrolled: 1-line block ×4, first 2 shown]
	v_sub_f32_e32 v1, v1, v3
	v_bfe_u32 v11, v10, 16, 1
	v_or_b32_e32 v12, 0x400000, v10
	v_bfe_u32 v15, v9, 16, 1
	v_cmp_u_f32_e32 vcc_lo, v10, v10
	v_or_b32_e32 v16, 0x400000, v9
	v_add3_u32 v11, v11, v10, 0x7fff
	v_bfe_u32 v17, v8, 16, 1
	v_add3_u32 v15, v15, v9, 0x7fff
	v_bfe_u32 v5, v6, 16, 1
	v_sub_f32_e32 v0, v0, v2
	v_cndmask_b32_e32 v10, v11, v12, vcc_lo
	v_cmp_u_f32_e32 vcc_lo, v9, v9
	v_add3_u32 v11, v17, v8, 0x7fff
	v_or_b32_e32 v12, 0x400000, v8
	v_mul_f32_e32 v2, s3, v4
	v_mul_f32_e32 v1, s3, v1
	v_cndmask_b32_e32 v9, v15, v16, vcc_lo
	v_cmp_u_f32_e32 vcc_lo, v8, v8
	v_mul_f32_e32 v0, s3, v0
	v_add3_u32 v3, v5, v6, 0x7fff
	v_or_b32_e32 v4, 0x400000, v6
	v_bfe_u32 v5, v2, 16, 1
	v_cndmask_b32_e32 v8, v11, v12, vcc_lo
	v_bfe_u32 v11, v1, 16, 1
	v_cmp_u_f32_e32 vcc_lo, v6, v6
	v_sub_f32_e32 v13, v35, v13
	v_bfe_u32 v12, v0, 16, 1
	v_or_b32_e32 v6, 0x400000, v1
	v_or_b32_e32 v15, 0x400000, v2
	v_cndmask_b32_e32 v4, v3, v4, vcc_lo
	v_add3_u32 v3, v5, v2, 0x7fff
	v_add3_u32 v5, v11, v1, 0x7fff
	v_cmp_u_f32_e32 vcc_lo, v1, v1
	v_mul_f32_e32 v7, s3, v13
	v_add3_u32 v11, v12, v0, 0x7fff
	v_or_b32_e32 v12, 0x400000, v0
	v_cndmask_b32_e32 v1, v5, v6, vcc_lo
	v_cmp_u_f32_e32 vcc_lo, v0, v0
	v_bfe_u32 v13, v7, 16, 1
	v_or_b32_e32 v14, 0x400000, v7
	v_cndmask_b32_e32 v0, v11, v12, vcc_lo
	v_cmp_u_f32_e32 vcc_lo, v2, v2
	v_add3_u32 v13, v13, v7, 0x7fff
	v_cndmask_b32_e32 v2, v3, v15, vcc_lo
	v_cmp_u_f32_e32 vcc_lo, v7, v7
	v_perm_b32 v3, v0, v1, 0x7060302
	v_perm_b32 v1, v8, v9, 0x7060302
	;; [unrolled: 1-line block ×3, first 2 shown]
	v_cndmask_b32_e32 v5, v13, v14, vcc_lo
	v_perm_b32 v0, v5, v10, 0x7060302
	global_store_dwordx4 v32, v[0:3], s[4:5]
	s_endpgm
	.section	.rodata,"a",@progbits
	.p2align	6, 0x0
	.amdhsa_kernel _Z30fast_hadamard_transform_kernelI37fast_hadamard_transform_kernel_traitsILi256ELi13E14__hip_bfloat16EEv18HadamardParamsBase
		.amdhsa_group_segment_fixed_size 0
		.amdhsa_private_segment_fixed_size 0
		.amdhsa_kernarg_size 312
		.amdhsa_user_sgpr_count 6
		.amdhsa_user_sgpr_private_segment_buffer 1
		.amdhsa_user_sgpr_dispatch_ptr 0
		.amdhsa_user_sgpr_queue_ptr 0
		.amdhsa_user_sgpr_kernarg_segment_ptr 1
		.amdhsa_user_sgpr_dispatch_id 0
		.amdhsa_user_sgpr_flat_scratch_init 0
		.amdhsa_user_sgpr_private_segment_size 0
		.amdhsa_wavefront_size32 1
		.amdhsa_uses_dynamic_stack 0
		.amdhsa_system_sgpr_private_segment_wavefront_offset 0
		.amdhsa_system_sgpr_workgroup_id_x 1
		.amdhsa_system_sgpr_workgroup_id_y 0
		.amdhsa_system_sgpr_workgroup_id_z 0
		.amdhsa_system_sgpr_workgroup_info 0
		.amdhsa_system_vgpr_workitem_id 0
		.amdhsa_next_free_vgpr 62
		.amdhsa_next_free_sgpr 20
		.amdhsa_reserve_vcc 1
		.amdhsa_reserve_flat_scratch 0
		.amdhsa_float_round_mode_32 0
		.amdhsa_float_round_mode_16_64 0
		.amdhsa_float_denorm_mode_32 3
		.amdhsa_float_denorm_mode_16_64 3
		.amdhsa_dx10_clamp 1
		.amdhsa_ieee_mode 1
		.amdhsa_fp16_overflow 0
		.amdhsa_workgroup_processor_mode 1
		.amdhsa_memory_ordered 1
		.amdhsa_forward_progress 1
		.amdhsa_shared_vgpr_count 0
		.amdhsa_exception_fp_ieee_invalid_op 0
		.amdhsa_exception_fp_denorm_src 0
		.amdhsa_exception_fp_ieee_div_zero 0
		.amdhsa_exception_fp_ieee_overflow 0
		.amdhsa_exception_fp_ieee_underflow 0
		.amdhsa_exception_fp_ieee_inexact 0
		.amdhsa_exception_int_div_zero 0
	.end_amdhsa_kernel
	.section	.text._Z30fast_hadamard_transform_kernelI37fast_hadamard_transform_kernel_traitsILi256ELi13E14__hip_bfloat16EEv18HadamardParamsBase,"axG",@progbits,_Z30fast_hadamard_transform_kernelI37fast_hadamard_transform_kernel_traitsILi256ELi13E14__hip_bfloat16EEv18HadamardParamsBase,comdat
.Lfunc_end36:
	.size	_Z30fast_hadamard_transform_kernelI37fast_hadamard_transform_kernel_traitsILi256ELi13E14__hip_bfloat16EEv18HadamardParamsBase, .Lfunc_end36-_Z30fast_hadamard_transform_kernelI37fast_hadamard_transform_kernel_traitsILi256ELi13E14__hip_bfloat16EEv18HadamardParamsBase
                                        ; -- End function
	.set _Z30fast_hadamard_transform_kernelI37fast_hadamard_transform_kernel_traitsILi256ELi13E14__hip_bfloat16EEv18HadamardParamsBase.num_vgpr, 62
	.set _Z30fast_hadamard_transform_kernelI37fast_hadamard_transform_kernel_traitsILi256ELi13E14__hip_bfloat16EEv18HadamardParamsBase.num_agpr, 0
	.set _Z30fast_hadamard_transform_kernelI37fast_hadamard_transform_kernel_traitsILi256ELi13E14__hip_bfloat16EEv18HadamardParamsBase.numbered_sgpr, 20
	.set _Z30fast_hadamard_transform_kernelI37fast_hadamard_transform_kernel_traitsILi256ELi13E14__hip_bfloat16EEv18HadamardParamsBase.num_named_barrier, 0
	.set _Z30fast_hadamard_transform_kernelI37fast_hadamard_transform_kernel_traitsILi256ELi13E14__hip_bfloat16EEv18HadamardParamsBase.private_seg_size, 0
	.set _Z30fast_hadamard_transform_kernelI37fast_hadamard_transform_kernel_traitsILi256ELi13E14__hip_bfloat16EEv18HadamardParamsBase.uses_vcc, 1
	.set _Z30fast_hadamard_transform_kernelI37fast_hadamard_transform_kernel_traitsILi256ELi13E14__hip_bfloat16EEv18HadamardParamsBase.uses_flat_scratch, 0
	.set _Z30fast_hadamard_transform_kernelI37fast_hadamard_transform_kernel_traitsILi256ELi13E14__hip_bfloat16EEv18HadamardParamsBase.has_dyn_sized_stack, 0
	.set _Z30fast_hadamard_transform_kernelI37fast_hadamard_transform_kernel_traitsILi256ELi13E14__hip_bfloat16EEv18HadamardParamsBase.has_recursion, 0
	.set _Z30fast_hadamard_transform_kernelI37fast_hadamard_transform_kernel_traitsILi256ELi13E14__hip_bfloat16EEv18HadamardParamsBase.has_indirect_call, 0
	.section	.AMDGPU.csdata,"",@progbits
; Kernel info:
; codeLenInByte = 9648
; TotalNumSgprs: 22
; NumVgprs: 62
; ScratchSize: 0
; MemoryBound: 0
; FloatMode: 240
; IeeeMode: 1
; LDSByteSize: 0 bytes/workgroup (compile time only)
; SGPRBlocks: 0
; VGPRBlocks: 7
; NumSGPRsForWavesPerEU: 22
; NumVGPRsForWavesPerEU: 62
; Occupancy: 16
; WaveLimiterHint : 0
; COMPUTE_PGM_RSRC2:SCRATCH_EN: 0
; COMPUTE_PGM_RSRC2:USER_SGPR: 6
; COMPUTE_PGM_RSRC2:TRAP_HANDLER: 0
; COMPUTE_PGM_RSRC2:TGID_X_EN: 1
; COMPUTE_PGM_RSRC2:TGID_Y_EN: 0
; COMPUTE_PGM_RSRC2:TGID_Z_EN: 0
; COMPUTE_PGM_RSRC2:TIDIG_COMP_CNT: 0
	.section	.text._Z30fast_hadamard_transform_kernelI37fast_hadamard_transform_kernel_traitsILi256ELi14E14__hip_bfloat16EEv18HadamardParamsBase,"axG",@progbits,_Z30fast_hadamard_transform_kernelI37fast_hadamard_transform_kernel_traitsILi256ELi14E14__hip_bfloat16EEv18HadamardParamsBase,comdat
	.protected	_Z30fast_hadamard_transform_kernelI37fast_hadamard_transform_kernel_traitsILi256ELi14E14__hip_bfloat16EEv18HadamardParamsBase ; -- Begin function _Z30fast_hadamard_transform_kernelI37fast_hadamard_transform_kernel_traitsILi256ELi14E14__hip_bfloat16EEv18HadamardParamsBase
	.globl	_Z30fast_hadamard_transform_kernelI37fast_hadamard_transform_kernel_traitsILi256ELi14E14__hip_bfloat16EEv18HadamardParamsBase
	.p2align	8
	.type	_Z30fast_hadamard_transform_kernelI37fast_hadamard_transform_kernel_traitsILi256ELi14E14__hip_bfloat16EEv18HadamardParamsBase,@function
_Z30fast_hadamard_transform_kernelI37fast_hadamard_transform_kernel_traitsILi256ELi14E14__hip_bfloat16EEv18HadamardParamsBase: ; @_Z30fast_hadamard_transform_kernelI37fast_hadamard_transform_kernel_traitsILi256ELi14E14__hip_bfloat16EEv18HadamardParamsBase
; %bb.0:
	s_clause 0x3
	s_load_dwordx4 s[20:23], s[4:5], 0x10
	s_load_dword s12, s[4:5], 0x4
	s_load_dwordx4 s[16:19], s[4:5], 0x28
	s_load_dword s0, s[4:5], 0x44
	s_ashr_i32 s15, s6, 31
	v_lshlrev_b32_e32 v9, 3, v0
	v_mov_b32_e32 v1, 0
	v_mov_b32_e32 v2, 0
	v_mov_b32_e32 v3, 0
	v_mov_b32_e32 v4, 0
	v_mov_b32_e32 v5, 0
	v_mov_b32_e32 v6, 0
	v_mov_b32_e32 v7, 0
	v_mov_b32_e32 v8, 0
	v_lshlrev_b32_e32 v71, 4, v0
	v_mov_b32_e32 v10, 0
	s_waitcnt lgkmcnt(0)
	s_mul_hi_u32 s1, s20, s6
	s_mul_i32 s2, s20, s15
	s_mul_i32 s3, s21, s6
	s_add_i32 s1, s1, s2
	s_mul_i32 s2, s20, s6
	s_add_i32 s3, s1, s3
	v_cmp_gt_u32_e64 s8, s12, v9
	s_lshl_b64 s[2:3], s[2:3], 1
	s_add_u32 s10, s16, s2
	s_addc_u32 s11, s17, s3
	s_and_saveexec_b32 s1, s8
	s_cbranch_execz .LBB37_2
; %bb.1:
	global_load_dwordx4 v[11:14], v71, s[10:11]
	s_waitcnt vmcnt(0)
	v_lshlrev_b32_e32 v10, 16, v11
	v_and_b32_e32 v8, 0xffff0000, v11
	v_lshlrev_b32_e32 v7, 16, v12
	v_and_b32_e32 v6, 0xffff0000, v12
	;; [unrolled: 2-line block ×4, first 2 shown]
.LBB37_2:
	s_or_b32 exec_lo, exec_lo, s1
	s_and_b32 s13, 0xffff, s0
	v_mov_b32_e32 v9, 0
	v_add_nc_u32_e32 v15, s13, v0
	v_mov_b32_e32 v11, 0
	v_mov_b32_e32 v12, 0
	;; [unrolled: 1-line block ×4, first 2 shown]
	v_lshlrev_b32_e32 v16, 3, v15
	v_mov_b32_e32 v18, 0
	v_lshlrev_b32_e32 v70, 4, v15
	v_mov_b32_e32 v19, 0
	v_cmp_gt_u32_e64 s7, s12, v16
	s_and_saveexec_b32 s0, s7
	s_cbranch_execz .LBB37_4
; %bb.3:
	global_load_dwordx4 v[20:23], v70, s[10:11]
	s_waitcnt vmcnt(0)
	v_lshlrev_b32_e32 v19, 16, v20
	v_and_b32_e32 v18, 0xffff0000, v20
	v_lshlrev_b32_e32 v14, 16, v21
	v_and_b32_e32 v13, 0xffff0000, v21
	v_lshlrev_b32_e32 v12, 16, v22
	v_and_b32_e32 v11, 0xffff0000, v22
	v_lshlrev_b32_e32 v9, 16, v23
	v_and_b32_e32 v1, 0xffff0000, v23
.LBB37_4:
	s_or_b32 exec_lo, exec_lo, s0
	v_add_nc_u32_e32 v24, s13, v15
	v_mov_b32_e32 v15, 0
	v_mov_b32_e32 v16, 0
	v_mov_b32_e32 v17, 0
	v_mov_b32_e32 v20, 0
	v_lshlrev_b32_e32 v25, 3, v24
	v_mov_b32_e32 v21, 0
	v_mov_b32_e32 v22, 0
	v_mov_b32_e32 v23, 0
	v_lshlrev_b32_e32 v69, 4, v24
	v_cmp_gt_u32_e64 s9, s12, v25
	v_mov_b32_e32 v25, 0
	v_mov_b32_e32 v26, 0
	s_and_saveexec_b32 s0, s9
	s_cbranch_execz .LBB37_6
; %bb.5:
	global_load_dwordx4 v[27:30], v69, s[10:11]
	s_waitcnt vmcnt(0)
	v_lshlrev_b32_e32 v26, 16, v27
	v_and_b32_e32 v25, 0xffff0000, v27
	v_lshlrev_b32_e32 v23, 16, v28
	v_and_b32_e32 v22, 0xffff0000, v28
	v_lshlrev_b32_e32 v21, 16, v29
	v_and_b32_e32 v20, 0xffff0000, v29
	v_lshlrev_b32_e32 v17, 16, v30
	v_and_b32_e32 v16, 0xffff0000, v30
.LBB37_6:
	s_or_b32 exec_lo, exec_lo, s0
	v_add_nc_u32_e32 v31, s13, v24
	v_mov_b32_e32 v24, 0
	v_mov_b32_e32 v27, 0
	v_mov_b32_e32 v28, 0
	v_mov_b32_e32 v29, 0
	v_lshlrev_b32_e32 v32, 3, v31
	v_mov_b32_e32 v30, 0
	v_mov_b32_e32 v34, 0
	v_lshlrev_b32_e32 v68, 4, v31
	v_mov_b32_e32 v35, 0
	v_cmp_gt_u32_e64 s3, s12, v32
	s_and_saveexec_b32 s0, s3
	s_cbranch_execz .LBB37_8
; %bb.7:
	global_load_dwordx4 v[36:39], v68, s[10:11]
	s_waitcnt vmcnt(0)
	v_lshlrev_b32_e32 v35, 16, v36
	v_and_b32_e32 v34, 0xffff0000, v36
	v_lshlrev_b32_e32 v30, 16, v37
	v_and_b32_e32 v29, 0xffff0000, v37
	v_lshlrev_b32_e32 v28, 16, v38
	v_and_b32_e32 v27, 0xffff0000, v38
	v_lshlrev_b32_e32 v24, 16, v39
	v_and_b32_e32 v15, 0xffff0000, v39
.LBB37_8:
	s_or_b32 exec_lo, exec_lo, s0
	v_add_nc_u32_e32 v40, s13, v31
	v_mov_b32_e32 v31, 0
	v_mov_b32_e32 v32, 0
	v_mov_b32_e32 v33, 0
	v_mov_b32_e32 v36, 0
	v_lshlrev_b32_e32 v41, 3, v40
	v_mov_b32_e32 v37, 0
	v_mov_b32_e32 v38, 0
	v_mov_b32_e32 v39, 0
	v_lshlrev_b32_e32 v67, 4, v40
	v_cmp_gt_u32_e64 s2, s12, v41
	v_mov_b32_e32 v41, 0
	v_mov_b32_e32 v42, 0
	s_and_saveexec_b32 s0, s2
	s_cbranch_execz .LBB37_10
; %bb.9:
	global_load_dwordx4 v[43:46], v67, s[10:11]
	s_waitcnt vmcnt(0)
	v_lshlrev_b32_e32 v42, 16, v43
	v_and_b32_e32 v41, 0xffff0000, v43
	v_lshlrev_b32_e32 v39, 16, v44
	v_and_b32_e32 v38, 0xffff0000, v44
	v_lshlrev_b32_e32 v37, 16, v45
	v_and_b32_e32 v36, 0xffff0000, v45
	v_lshlrev_b32_e32 v33, 16, v46
	v_and_b32_e32 v32, 0xffff0000, v46
.LBB37_10:
	s_or_b32 exec_lo, exec_lo, s0
	v_add_nc_u32_e32 v47, s13, v40
	v_mov_b32_e32 v40, 0
	v_mov_b32_e32 v43, 0
	v_mov_b32_e32 v44, 0
	v_mov_b32_e32 v45, 0
	v_lshlrev_b32_e32 v48, 3, v47
	v_mov_b32_e32 v46, 0
	;; [unrolled: 54-line block ×3, first 2 shown]
	v_mov_b32_e32 v63, 0
	v_lshlrev_b32_e32 v64, 4, v64
	v_cmp_gt_u32_e32 vcc_lo, s12, v72
	v_mov_b32_e32 v72, 0
	s_and_saveexec_b32 s12, vcc_lo
	s_cbranch_execz .LBB37_16
; %bb.15:
	global_load_dwordx4 v[73:76], v64, s[10:11]
	s_waitcnt vmcnt(0)
	v_lshlrev_b32_e32 v72, 16, v73
	v_and_b32_e32 v63, 0xffff0000, v73
	v_lshlrev_b32_e32 v62, 16, v74
	v_and_b32_e32 v61, 0xffff0000, v74
	;; [unrolled: 2-line block ×4, first 2 shown]
.LBB37_16:
	s_or_b32 exec_lo, exec_lo, s12
	v_add_f32_e32 v73, v8, v10
	v_sub_f32_e32 v8, v10, v8
	v_add_f32_e32 v10, v18, v19
	v_sub_f32_e32 v18, v19, v18
	;; [unrolled: 2-line block ×63, first 2 shown]
	v_add_f32_e32 v52, v47, v59
	v_add_f32_e32 v74, v11, v18
	v_sub_f32_e32 v11, v18, v11
	v_add_f32_e32 v18, v20, v25
	v_sub_f32_e32 v20, v25, v20
	;; [unrolled: 2-line block ×8, first 2 shown]
	v_mbcnt_lo_u32_b32 v3, -1, 0
	v_sub_f32_e32 v47, v59, v47
	v_add_f32_e32 v59, v56, v63
	v_sub_f32_e32 v56, v56, v63
	v_add_f32_e32 v63, v62, v73
	;; [unrolled: 2-line block ×10, first 2 shown]
	v_sub_f32_e32 v8, v8, v2
	v_xor_b32_e32 v2, 1, v3
	v_add_f32_e32 v75, v9, v14
	v_sub_f32_e32 v9, v14, v9
	v_add_f32_e32 v14, v17, v23
	v_sub_f32_e32 v17, v23, v17
	v_cmp_gt_i32_e64 s10, 32, v2
	v_add_f32_e32 v23, v24, v30
	v_sub_f32_e32 v24, v30, v24
	v_add_f32_e32 v30, v33, v39
	v_sub_f32_e32 v33, v39, v33
	v_cndmask_b32_e64 v2, v3, v2, s10
	v_add_f32_e32 v39, v40, v46
	v_sub_f32_e32 v40, v46, v40
	v_add_f32_e32 v46, v49, v55
	v_sub_f32_e32 v49, v55, v49
	v_lshlrev_b32_e32 v2, 2, v2
	v_add_f32_e32 v55, v6, v4
	v_sub_f32_e32 v4, v6, v4
	v_add_f32_e32 v6, v1, v13
	v_sub_f32_e32 v1, v13, v1
	ds_bpermute_b32 v13, v2, v59
	v_add_f32_e32 v76, v16, v22
	v_sub_f32_e32 v16, v22, v16
	v_add_f32_e32 v22, v15, v29
	v_sub_f32_e32 v15, v29, v15
	;; [unrolled: 2-line block ×4, first 2 shown]
	v_and_b32_e32 v45, 1, v0
	ds_bpermute_b32 v77, v2, v51
	ds_bpermute_b32 v78, v2, v57
	ds_bpermute_b32 v79, v2, v55
	ds_bpermute_b32 v82, v2, v63
	v_cmp_eq_u32_e64 s12, 0, v45
	ds_bpermute_b32 v80, v2, v56
	ds_bpermute_b32 v81, v2, v4
	ds_bpermute_b32 v84, v2, v75
	ds_bpermute_b32 v83, v2, v58
	v_cndmask_b32_e64 v45, -v59, v59, s12
	v_add_f32_e32 v59, v48, v54
	v_sub_f32_e32 v48, v54, v48
	v_add_f32_e32 v54, v47, v61
	v_sub_f32_e32 v47, v61, v47
	s_waitcnt lgkmcnt(8)
	v_add_f32_e32 v13, v45, v13
	v_cndmask_b32_e64 v45, -v51, v51, s12
	v_cndmask_b32_e64 v51, -v57, v57, s12
	ds_bpermute_b32 v57, v2, v53
	ds_bpermute_b32 v61, v2, v60
	v_cndmask_b32_e64 v55, -v55, v55, s12
	s_waitcnt lgkmcnt(9)
	v_add_f32_e32 v45, v45, v77
	v_cndmask_b32_e64 v53, -v53, v53, s12
	v_cndmask_b32_e64 v60, -v60, v60, s12
	ds_bpermute_b32 v77, v2, v72
	v_cndmask_b32_e64 v63, -v63, v63, s12
	v_cndmask_b32_e64 v56, -v56, v56, s12
	s_waitcnt lgkmcnt(9)
	v_add_f32_e32 v51, v51, v78
	s_waitcnt lgkmcnt(8)
	v_add_f32_e32 v55, v55, v79
	v_cndmask_b32_e64 v4, -v4, v4, s12
	ds_bpermute_b32 v78, v2, v6
	ds_bpermute_b32 v79, v2, v62
	s_waitcnt lgkmcnt(8)
	v_add_f32_e32 v56, v56, v80
	ds_bpermute_b32 v80, v2, v8
	s_waitcnt lgkmcnt(8)
	v_add_f32_e32 v4, v4, v81
	ds_bpermute_b32 v81, v2, v73
	v_cndmask_b32_e64 v6, -v6, v6, s12
	v_cndmask_b32_e64 v62, -v62, v62, s12
	s_waitcnt lgkmcnt(6)
	v_add_f32_e32 v53, v53, v57
	s_waitcnt lgkmcnt(5)
	v_add_f32_e32 v57, v60, v61
	v_add_f32_e32 v60, v63, v82
	v_cndmask_b32_e64 v61, -v72, v72, s12
	ds_bpermute_b32 v63, v2, v7
	ds_bpermute_b32 v72, v2, v1
	;; [unrolled: 1-line block ×3, first 2 shown]
	v_cndmask_b32_e64 v7, -v7, v7, s12
	s_waitcnt lgkmcnt(7)
	v_add_f32_e32 v61, v61, v77
	v_cndmask_b32_e64 v1, -v1, v1, s12
	ds_bpermute_b32 v77, v2, v76
	v_cndmask_b32_e64 v8, -v8, v8, s12
	s_waitcnt lgkmcnt(7)
	v_add_f32_e32 v6, v6, v78
	s_waitcnt lgkmcnt(6)
	v_add_f32_e32 v62, v62, v79
	v_cndmask_b32_e64 v73, -v73, v73, s12
	ds_bpermute_b32 v78, v2, v5
	ds_bpermute_b32 v79, v2, v11
	v_cndmask_b32_e64 v74, -v74, v74, s12
	v_cndmask_b32_e64 v75, -v75, v75, s12
	s_waitcnt lgkmcnt(7)
	v_add_f32_e32 v8, v8, v80
	ds_bpermute_b32 v80, v2, v9
	v_cndmask_b32_e64 v5, -v5, v5, s12
	v_cndmask_b32_e64 v11, -v11, v11, s12
	;; [unrolled: 1-line block ×3, first 2 shown]
	s_waitcnt lgkmcnt(6)
	v_add_f32_e32 v7, v7, v63
	s_waitcnt lgkmcnt(5)
	v_add_f32_e32 v63, v1, v72
	v_cndmask_b32_e64 v1, -v76, v76, s12
	ds_bpermute_b32 v76, v2, v10
	v_add_f32_e32 v72, v73, v81
	s_waitcnt lgkmcnt(5)
	v_add_f32_e32 v73, v74, v82
	v_add_f32_e32 v74, v75, v84
	ds_bpermute_b32 v75, v2, v16
	ds_bpermute_b32 v81, v2, v18
	s_waitcnt lgkmcnt(6)
	v_add_f32_e32 v77, v1, v77
	v_cndmask_b32_e64 v1, -v16, v16, s12
	v_cndmask_b32_e64 v10, -v10, v10, s12
	;; [unrolled: 1-line block ×3, first 2 shown]
	ds_bpermute_b32 v18, v2, v12
	s_waitcnt lgkmcnt(6)
	v_add_f32_e32 v5, v5, v78
	s_waitcnt lgkmcnt(5)
	v_add_f32_e32 v11, v11, v79
	ds_bpermute_b32 v78, v2, v20
	ds_bpermute_b32 v79, v2, v17
	s_waitcnt lgkmcnt(6)
	v_add_f32_e32 v9, v9, v80
	ds_bpermute_b32 v80, v2, v15
	v_cndmask_b32_e64 v17, -v17, v17, s12
	v_cndmask_b32_e64 v15, -v15, v15, s12
	ds_bpermute_b32 v82, v2, v14
	s_waitcnt lgkmcnt(7)
	v_add_f32_e32 v10, v10, v76
	ds_bpermute_b32 v76, v2, v25
	v_cndmask_b32_e64 v14, -v14, v14, s12
	ds_bpermute_b32 v84, v2, v21
	s_waitcnt lgkmcnt(8)
	v_add_f32_e32 v75, v1, v75
	s_waitcnt lgkmcnt(7)
	v_add_f32_e32 v16, v16, v81
	v_cndmask_b32_e64 v1, -v12, v12, s12
	v_cndmask_b32_e64 v12, -v20, v20, s12
	ds_bpermute_b32 v20, v2, v19
	ds_bpermute_b32 v81, v2, v23
	v_cndmask_b32_e64 v23, -v23, v23, s12
	s_waitcnt lgkmcnt(8)
	v_add_f32_e32 v18, v1, v18
	v_cndmask_b32_e64 v1, -v19, v19, s12
	v_cndmask_b32_e64 v19, -v25, v25, s12
	ds_bpermute_b32 v25, v2, v27
	s_waitcnt lgkmcnt(8)
	v_add_f32_e32 v12, v12, v78
	s_waitcnt lgkmcnt(7)
	v_add_f32_e32 v17, v17, v79
	ds_bpermute_b32 v78, v2, v24
	ds_bpermute_b32 v79, v2, v32
	s_waitcnt lgkmcnt(8)
	v_add_f32_e32 v15, v15, v80
	ds_bpermute_b32 v80, v2, v26
	s_waitcnt lgkmcnt(7)
	v_add_f32_e32 v19, v19, v76
	ds_bpermute_b32 v76, v2, v30
	v_cndmask_b32_e64 v24, -v24, v24, s12
	v_cndmask_b32_e64 v32, -v32, v32, s12
	;; [unrolled: 1-line block ×4, first 2 shown]
	v_add_f32_e32 v14, v14, v82
	s_waitcnt lgkmcnt(6)
	v_add_f32_e32 v20, v1, v20
	s_waitcnt lgkmcnt(5)
	v_add_f32_e32 v23, v23, v81
	v_cndmask_b32_e64 v1, -v27, v27, s12
	ds_bpermute_b32 v27, v2, v34
	ds_bpermute_b32 v81, v2, v38
	;; [unrolled: 1-line block ×3, first 2 shown]
	v_cndmask_b32_e64 v58, -v58, v58, s12
	s_waitcnt lgkmcnt(7)
	v_add_f32_e32 v25, v1, v25
	v_cndmask_b32_e64 v1, -v34, v34, s12
	v_cndmask_b32_e64 v34, -v38, v38, s12
	ds_bpermute_b32 v38, v2, v33
	s_waitcnt lgkmcnt(7)
	v_add_f32_e32 v24, v24, v78
	s_waitcnt lgkmcnt(6)
	v_add_f32_e32 v32, v32, v79
	ds_bpermute_b32 v78, v2, v31
	ds_bpermute_b32 v79, v2, v35
	s_waitcnt lgkmcnt(6)
	v_add_f32_e32 v30, v30, v76
	ds_bpermute_b32 v76, v2, v59
	v_add_f32_e32 v26, v26, v80
	ds_bpermute_b32 v80, v2, v41
	v_cndmask_b32_e64 v31, -v31, v31, s12
	v_cndmask_b32_e64 v35, -v35, v35, s12
	v_add_f32_e32 v58, v58, v83
	ds_bpermute_b32 v83, v2, v22
	s_waitcnt lgkmcnt(8)
	v_add_f32_e32 v27, v1, v27
	s_waitcnt lgkmcnt(7)
	v_add_f32_e32 v34, v34, v81
	v_cndmask_b32_e64 v1, -v33, v33, s12
	ds_bpermute_b32 v33, v2, v39
	ds_bpermute_b32 v81, v2, v37
	v_cndmask_b32_e64 v21, -v21, v21, s12
	v_cndmask_b32_e64 v41, -v41, v41, s12
	s_waitcnt lgkmcnt(7)
	v_add_f32_e32 v38, v1, v38
	v_cndmask_b32_e64 v1, -v39, v39, s12
	v_cndmask_b32_e64 v39, -v59, v59, s12
	ds_bpermute_b32 v59, v2, v48
	s_waitcnt lgkmcnt(7)
	v_add_f32_e32 v31, v31, v78
	s_waitcnt lgkmcnt(6)
	v_add_f32_e32 v35, v35, v79
	v_cndmask_b32_e64 v37, -v37, v37, s12
	ds_bpermute_b32 v78, v2, v42
	ds_bpermute_b32 v79, v2, v50
	s_waitcnt lgkmcnt(7)
	v_add_f32_e32 v39, v39, v76
	v_xor_b32_e32 v76, 2, v3
	v_cndmask_b32_e64 v29, -v29, v29, s12
	v_add_f32_e32 v21, v21, v84
	ds_bpermute_b32 v84, v2, v40
	s_waitcnt lgkmcnt(7)
	v_add_f32_e32 v41, v41, v80
	ds_bpermute_b32 v80, v2, v54
	s_waitcnt lgkmcnt(6)
	v_add_f32_e32 v33, v1, v33
	s_waitcnt lgkmcnt(5)
	v_add_f32_e32 v37, v37, v81
	v_cndmask_b32_e64 v1, -v48, v48, s12
	ds_bpermute_b32 v48, v2, v46
	ds_bpermute_b32 v81, v2, v44
	v_cmp_gt_i32_e64 s10, 32, v76
	v_add_f32_e32 v29, v29, v82
	ds_bpermute_b32 v82, v2, v28
	v_cndmask_b32_e64 v22, -v22, v22, s12
	v_cndmask_b32_e64 v42, -v42, v42, s12
	v_cndmask_b32_e64 v76, v3, v76, s10
	v_cndmask_b32_e64 v50, -v50, v50, s12
	s_waitcnt lgkmcnt(7)
	v_add_f32_e32 v59, v1, v59
	v_add_f32_e32 v22, v22, v83
	ds_bpermute_b32 v83, v2, v36
	v_lshlrev_b32_e32 v1, 2, v76
	v_cndmask_b32_e64 v40, -v40, v40, s12
	s_waitcnt lgkmcnt(7)
	v_add_f32_e32 v42, v42, v78
	s_waitcnt lgkmcnt(6)
	v_add_f32_e32 v50, v50, v79
	v_cndmask_b32_e64 v46, -v46, v46, s12
	v_cndmask_b32_e64 v54, -v54, v54, s12
	ds_bpermute_b32 v76, v2, v49
	ds_bpermute_b32 v78, v2, v47
	;; [unrolled: 1-line block ×3, first 2 shown]
	v_cndmask_b32_e64 v44, -v44, v44, s12
	v_cndmask_b32_e64 v28, -v28, v28, s12
	s_waitcnt lgkmcnt(8)
	v_add_f32_e32 v40, v40, v84
	v_and_b32_e32 v84, 2, v0
	s_waitcnt lgkmcnt(6)
	v_add_f32_e32 v46, v46, v48
	v_add_f32_e32 v48, v54, v80
	s_waitcnt lgkmcnt(5)
	v_add_f32_e32 v44, v44, v81
	ds_bpermute_b32 v54, v1, v51
	ds_bpermute_b32 v80, v1, v55
	;; [unrolled: 1-line block ×3, first 2 shown]
	s_waitcnt lgkmcnt(7)
	v_add_f32_e32 v28, v28, v82
	ds_bpermute_b32 v82, v2, v43
	v_cmp_eq_u32_e64 s10, 0, v84
	v_cndmask_b32_e64 v36, -v36, v36, s12
	v_cndmask_b32_e64 v49, -v49, v49, s12
	;; [unrolled: 1-line block ×5, first 2 shown]
	s_waitcnt lgkmcnt(7)
	v_add_f32_e32 v36, v36, v83
	ds_bpermute_b32 v83, v1, v45
	s_waitcnt lgkmcnt(7)
	v_add_f32_e32 v49, v49, v76
	s_waitcnt lgkmcnt(6)
	v_add_f32_e32 v47, v47, v78
	;; [unrolled: 2-line block ×3, first 2 shown]
	v_cndmask_b32_e64 v51, -v51, v51, s10
	ds_bpermute_b32 v76, v1, v57
	ds_bpermute_b32 v78, v1, v4
	;; [unrolled: 1-line block ×3, first 2 shown]
	v_cndmask_b32_e64 v55, -v55, v55, s10
	v_cndmask_b32_e64 v56, -v56, v56, s10
	s_waitcnt lgkmcnt(7)
	v_add_f32_e32 v51, v51, v54
	v_cndmask_b32_e64 v45, -v45, v45, s10
	s_waitcnt lgkmcnt(4)
	v_add_f32_e32 v43, v43, v82
	v_add_f32_e32 v54, v55, v80
	;; [unrolled: 1-line block ×3, first 2 shown]
	ds_bpermute_b32 v56, v1, v61
	ds_bpermute_b32 v80, v1, v6
	;; [unrolled: 1-line block ×4, first 2 shown]
	v_cndmask_b32_e64 v57, -v57, v57, s10
	v_cndmask_b32_e64 v4, -v4, v4, s10
	;; [unrolled: 1-line block ×3, first 2 shown]
	s_waitcnt lgkmcnt(7)
	v_add_f32_e32 v45, v45, v83
	ds_bpermute_b32 v83, v1, v8
	v_cndmask_b32_e64 v61, -v61, v61, s10
	s_waitcnt lgkmcnt(7)
	v_add_f32_e32 v57, v57, v76
	s_waitcnt lgkmcnt(6)
	v_add_f32_e32 v4, v4, v78
	;; [unrolled: 2-line block ×3, first 2 shown]
	ds_bpermute_b32 v76, v1, v7
	ds_bpermute_b32 v78, v1, v63
	;; [unrolled: 1-line block ×3, first 2 shown]
	v_cndmask_b32_e64 v6, -v6, v6, s10
	v_cndmask_b32_e64 v62, -v62, v62, s10
	;; [unrolled: 1-line block ×4, first 2 shown]
	s_waitcnt lgkmcnt(7)
	v_add_f32_e32 v56, v61, v56
	s_waitcnt lgkmcnt(6)
	v_add_f32_e32 v6, v6, v80
	;; [unrolled: 2-line block ×3, first 2 shown]
	ds_bpermute_b32 v62, v1, v74
	ds_bpermute_b32 v80, v1, v77
	;; [unrolled: 1-line block ×3, first 2 shown]
	s_waitcnt lgkmcnt(7)
	v_add_f32_e32 v52, v52, v82
	ds_bpermute_b32 v82, v1, v58
	v_cndmask_b32_e64 v7, -v7, v7, s10
	v_cndmask_b32_e64 v63, -v63, v63, s10
	;; [unrolled: 1-line block ×3, first 2 shown]
	s_waitcnt lgkmcnt(7)
	v_add_f32_e32 v8, v8, v83
	v_cndmask_b32_e64 v74, -v74, v74, s10
	s_waitcnt lgkmcnt(6)
	v_add_f32_e32 v7, v7, v76
	s_waitcnt lgkmcnt(5)
	v_add_f32_e32 v63, v63, v78
	;; [unrolled: 2-line block ×3, first 2 shown]
	ds_bpermute_b32 v76, v1, v9
	ds_bpermute_b32 v78, v1, v75
	;; [unrolled: 1-line block ×4, first 2 shown]
	v_cndmask_b32_e64 v77, -v77, v77, s10
	v_cndmask_b32_e64 v5, -v5, v5, s10
	;; [unrolled: 1-line block ×3, first 2 shown]
	s_waitcnt lgkmcnt(7)
	v_add_f32_e32 v62, v74, v62
	v_cndmask_b32_e64 v9, -v9, v9, s10
	s_waitcnt lgkmcnt(6)
	v_add_f32_e32 v74, v77, v80
	s_waitcnt lgkmcnt(5)
	v_add_f32_e32 v5, v5, v81
	ds_bpermute_b32 v80, v1, v22
	ds_bpermute_b32 v81, v1, v18
	s_waitcnt lgkmcnt(6)
	v_add_f32_e32 v58, v58, v82
	ds_bpermute_b32 v82, v1, v73
	ds_bpermute_b32 v77, v1, v14
	v_cndmask_b32_e64 v75, -v75, v75, s10
	v_cndmask_b32_e64 v10, -v10, v10, s10
	;; [unrolled: 1-line block ×4, first 2 shown]
	s_waitcnt lgkmcnt(7)
	v_add_f32_e32 v9, v9, v76
	s_waitcnt lgkmcnt(6)
	v_add_f32_e32 v75, v75, v78
	;; [unrolled: 2-line block ×4, first 2 shown]
	ds_bpermute_b32 v16, v1, v17
	ds_bpermute_b32 v78, v1, v15
	;; [unrolled: 1-line block ×3, first 2 shown]
	v_cndmask_b32_e64 v18, -v18, v18, s10
	v_cndmask_b32_e64 v73, -v73, v73, s10
	v_cndmask_b32_e64 v14, -v14, v14, s10
	v_cndmask_b32_e64 v17, -v17, v17, s10
	s_waitcnt lgkmcnt(6)
	v_add_f32_e32 v22, v22, v80
	s_waitcnt lgkmcnt(5)
	v_add_f32_e32 v18, v18, v81
	ds_bpermute_b32 v80, v1, v29
	ds_bpermute_b32 v81, v1, v21
	s_waitcnt lgkmcnt(6)
	v_add_f32_e32 v73, v73, v82
	ds_bpermute_b32 v82, v1, v12
	s_waitcnt lgkmcnt(6)
	v_add_f32_e32 v14, v14, v77
	ds_bpermute_b32 v77, v1, v23
	v_cndmask_b32_e64 v15, -v15, v15, s10
	v_cndmask_b32_e64 v20, -v20, v20, s10
	;; [unrolled: 1-line block ×5, first 2 shown]
	s_waitcnt lgkmcnt(6)
	v_add_f32_e32 v17, v17, v16
	s_waitcnt lgkmcnt(5)
	v_add_f32_e32 v15, v15, v78
	;; [unrolled: 2-line block ×3, first 2 shown]
	v_cndmask_b32_e64 v16, -v23, v23, s10
	ds_bpermute_b32 v23, v1, v24
	ds_bpermute_b32 v78, v1, v32
	;; [unrolled: 1-line block ×4, first 2 shown]
	v_cndmask_b32_e64 v24, -v24, v24, s10
	s_waitcnt lgkmcnt(7)
	v_add_f32_e32 v29, v29, v80
	s_waitcnt lgkmcnt(6)
	v_add_f32_e32 v21, v21, v81
	ds_bpermute_b32 v80, v1, v34
	ds_bpermute_b32 v81, v1, v28
	s_waitcnt lgkmcnt(7)
	v_add_f32_e32 v12, v12, v82
	ds_bpermute_b32 v82, v1, v27
	s_waitcnt lgkmcnt(7)
	v_add_f32_e32 v77, v16, v77
	ds_bpermute_b32 v16, v1, v30
	v_cndmask_b32_e64 v32, -v32, v32, s10
	v_cndmask_b32_e64 v26, -v26, v26, s10
	ds_bpermute_b32 v84, v1, v53
	v_cndmask_b32_e64 v34, -v34, v34, s10
	v_cndmask_b32_e64 v28, -v28, v28, s10
	;; [unrolled: 1-line block ×4, first 2 shown]
	s_waitcnt lgkmcnt(8)
	v_add_f32_e32 v23, v24, v23
	s_waitcnt lgkmcnt(7)
	v_add_f32_e32 v24, v32, v78
	;; [unrolled: 2-line block ×3, first 2 shown]
	ds_bpermute_b32 v32, v1, v38
	ds_bpermute_b32 v78, v1, v31
	;; [unrolled: 1-line block ×3, first 2 shown]
	v_cndmask_b32_e64 v30, -v30, v30, s10
	s_waitcnt lgkmcnt(7)
	v_add_f32_e32 v34, v34, v80
	s_waitcnt lgkmcnt(6)
	v_add_f32_e32 v28, v28, v81
	ds_bpermute_b32 v80, v1, v39
	ds_bpermute_b32 v81, v1, v37
	v_add_f32_e32 v19, v19, v83
	ds_bpermute_b32 v83, v1, v36
	s_waitcnt lgkmcnt(8)
	v_add_f32_e32 v27, v27, v82
	ds_bpermute_b32 v82, v1, v41
	s_waitcnt lgkmcnt(8)
	v_add_f32_e32 v30, v30, v16
	v_cndmask_b32_e64 v16, -v38, v38, s10
	ds_bpermute_b32 v38, v1, v33
	v_cndmask_b32_e64 v53, -v53, v53, s10
	v_cndmask_b32_e64 v31, -v31, v31, s10
	;; [unrolled: 1-line block ×5, first 2 shown]
	s_waitcnt lgkmcnt(8)
	v_add_f32_e32 v53, v53, v84
	ds_bpermute_b32 v84, v1, v11
	s_waitcnt lgkmcnt(8)
	v_add_f32_e32 v32, v16, v32
	s_waitcnt lgkmcnt(7)
	v_add_f32_e32 v31, v31, v78
	;; [unrolled: 2-line block ×3, first 2 shown]
	v_cndmask_b32_e64 v16, -v33, v33, s10
	v_cndmask_b32_e64 v33, -v39, v39, s10
	ds_bpermute_b32 v39, v1, v40
	ds_bpermute_b32 v78, v1, v59
	;; [unrolled: 1-line block ×3, first 2 shown]
	v_cndmask_b32_e64 v41, -v41, v41, s10
	s_waitcnt lgkmcnt(8)
	v_add_f32_e32 v33, v33, v80
	s_waitcnt lgkmcnt(7)
	v_add_f32_e32 v37, v37, v81
	v_xor_b32_e32 v80, 4, v3
	ds_bpermute_b32 v81, v1, v48
	s_waitcnt lgkmcnt(7)
	v_add_f32_e32 v36, v36, v83
	ds_bpermute_b32 v83, v1, v50
	s_waitcnt lgkmcnt(7)
	v_add_f32_e32 v41, v41, v82
	s_waitcnt lgkmcnt(6)
	v_add_f32_e32 v38, v16, v38
	v_cndmask_b32_e64 v16, -v40, v40, s10
	v_cndmask_b32_e64 v40, -v59, v59, s10
	ds_bpermute_b32 v59, v1, v46
	ds_bpermute_b32 v82, v1, v44
	v_cmp_gt_i32_e64 s11, 32, v80
	v_cndmask_b32_e64 v11, -v11, v11, s10
	v_cndmask_b32_e64 v42, -v42, v42, s10
	;; [unrolled: 1-line block ×3, first 2 shown]
	s_waitcnt lgkmcnt(6)
	v_add_f32_e32 v39, v16, v39
	v_cndmask_b32_e64 v80, v3, v80, s11
	v_add_f32_e32 v11, v11, v84
	ds_bpermute_b32 v84, v1, v25
	s_waitcnt lgkmcnt(6)
	v_add_f32_e32 v40, v40, v78
	s_waitcnt lgkmcnt(5)
	v_add_f32_e32 v42, v42, v79
	ds_bpermute_b32 v78, v1, v52
	v_lshlrev_b32_e32 v16, 2, v80
	ds_bpermute_b32 v79, v1, v49
	v_cndmask_b32_e64 v50, -v50, v50, s10
	v_cndmask_b32_e64 v46, -v46, v46, s10
	ds_bpermute_b32 v80, v1, v47
	v_cndmask_b32_e64 v44, -v44, v44, s10
	s_waitcnt lgkmcnt(7)
	v_add_f32_e32 v48, v48, v81
	ds_bpermute_b32 v81, v16, v45
	s_waitcnt lgkmcnt(7)
	v_add_f32_e32 v50, v50, v83
	ds_bpermute_b32 v83, v16, v13
	s_waitcnt lgkmcnt(7)
	v_add_f32_e32 v46, v46, v59
	v_and_b32_e32 v59, 4, v0
	s_waitcnt lgkmcnt(6)
	v_add_f32_e32 v44, v44, v82
	ds_bpermute_b32 v82, v16, v51
	v_cndmask_b32_e64 v25, -v25, v25, s10
	v_cndmask_b32_e64 v52, -v52, v52, s10
	;; [unrolled: 1-line block ×3, first 2 shown]
	v_cmp_eq_u32_e64 s11, 0, v59
	ds_bpermute_b32 v59, v16, v55
	s_waitcnt lgkmcnt(7)
	v_add_f32_e32 v25, v25, v84
	ds_bpermute_b32 v84, v1, v43
	v_cndmask_b32_e64 v47, -v47, v47, s10
	s_waitcnt lgkmcnt(7)
	v_add_f32_e32 v52, v52, v78
	s_waitcnt lgkmcnt(6)
	v_add_f32_e32 v49, v49, v79
	ds_bpermute_b32 v78, v16, v53
	ds_bpermute_b32 v79, v16, v57
	v_cndmask_b32_e64 v45, -v45, v45, s11
	v_cndmask_b32_e64 v13, -v13, v13, s11
	s_waitcnt lgkmcnt(7)
	v_add_f32_e32 v47, v47, v80
	v_cndmask_b32_e64 v51, -v51, v51, s11
	ds_bpermute_b32 v80, v16, v4
	s_waitcnt lgkmcnt(7)
	v_add_f32_e32 v45, v45, v81
	ds_bpermute_b32 v81, v16, v60
	s_waitcnt lgkmcnt(7)
	v_add_f32_e32 v13, v13, v83
	s_waitcnt lgkmcnt(6)
	v_add_f32_e32 v51, v51, v82
	ds_bpermute_b32 v82, v16, v58
	v_cndmask_b32_e64 v55, -v55, v55, s11
	ds_bpermute_b32 v83, v16, v56
	v_cndmask_b32_e64 v43, -v43, v43, s10
	v_cndmask_b32_e64 v53, -v53, v53, s11
	;; [unrolled: 1-line block ×3, first 2 shown]
	s_waitcnt lgkmcnt(7)
	v_add_f32_e32 v55, v55, v59
	ds_bpermute_b32 v59, v16, v6
	s_waitcnt lgkmcnt(7)
	v_add_f32_e32 v43, v43, v84
	ds_bpermute_b32 v84, v16, v54
	v_cndmask_b32_e64 v4, -v4, v4, s11
	s_waitcnt lgkmcnt(7)
	v_add_f32_e32 v53, v53, v78
	ds_bpermute_b32 v78, v16, v61
	s_waitcnt lgkmcnt(7)
	v_add_f32_e32 v57, v57, v79
	ds_bpermute_b32 v79, v16, v8
	v_cndmask_b32_e64 v60, -v60, v60, s11
	v_cndmask_b32_e64 v58, -v58, v58, s11
	s_waitcnt lgkmcnt(7)
	v_add_f32_e32 v80, v4, v80
	v_cndmask_b32_e64 v4, -v56, v56, s11
	v_cndmask_b32_e64 v54, -v54, v54, s11
	s_waitcnt lgkmcnt(6)
	v_add_f32_e32 v56, v60, v81
	ds_bpermute_b32 v60, v16, v63
	s_waitcnt lgkmcnt(6)
	v_add_f32_e32 v58, v58, v82
	s_waitcnt lgkmcnt(5)
	v_add_f32_e32 v82, v4, v83
	v_cndmask_b32_e64 v4, -v6, v6, s11
	ds_bpermute_b32 v6, v16, v73
	v_cndmask_b32_e64 v61, -v61, v61, s11
	v_cndmask_b32_e64 v8, -v8, v8, s11
	;; [unrolled: 1-line block ×3, first 2 shown]
	s_waitcnt lgkmcnt(5)
	v_add_f32_e32 v59, v4, v59
	ds_bpermute_b32 v4, v16, v62
	s_waitcnt lgkmcnt(5)
	v_add_f32_e32 v54, v54, v84
	ds_bpermute_b32 v84, v16, v7
	;; [unrolled: 3-line block ×4, first 2 shown]
	v_cndmask_b32_e64 v73, -v73, v73, s11
	v_cndmask_b32_e64 v62, -v62, v62, s11
	ds_bpermute_b32 v81, v16, v72
	v_cndmask_b32_e64 v7, -v7, v7, s11
	s_waitcnt lgkmcnt(6)
	v_add_f32_e32 v60, v63, v60
	ds_bpermute_b32 v63, v16, v9
	v_cndmask_b32_e64 v5, -v5, v5, s11
	v_cndmask_b32_e64 v9, -v9, v9, s11
	s_waitcnt lgkmcnt(6)
	v_add_f32_e32 v6, v73, v6
	v_cndmask_b32_e64 v73, -v74, v74, s11
	ds_bpermute_b32 v74, v16, v14
	v_cndmask_b32_e64 v72, -v72, v72, s11
	ds_bpermute_b32 v83, v16, v11
	s_waitcnt lgkmcnt(7)
	v_add_f32_e32 v62, v62, v4
	ds_bpermute_b32 v4, v16, v76
	s_waitcnt lgkmcnt(7)
	v_add_f32_e32 v7, v7, v84
	;; [unrolled: 3-line block ×3, first 2 shown]
	v_cndmask_b32_e64 v76, -v76, v76, s11
	s_waitcnt lgkmcnt(6)
	v_add_f32_e32 v78, v5, v79
	ds_bpermute_b32 v5, v16, v22
	ds_bpermute_b32 v79, v16, v18
	s_waitcnt lgkmcnt(7)
	v_add_f32_e32 v72, v72, v81
	ds_bpermute_b32 v81, v16, v75
	v_cndmask_b32_e64 v10, -v10, v10, s11
	s_waitcnt lgkmcnt(7)
	v_add_f32_e32 v9, v9, v63
	ds_bpermute_b32 v63, v16, v12
	v_cndmask_b32_e64 v14, -v14, v14, s11
	v_cndmask_b32_e64 v22, -v22, v22, s11
	;; [unrolled: 1-line block ×5, first 2 shown]
	s_waitcnt lgkmcnt(7)
	v_add_f32_e32 v14, v14, v74
	ds_bpermute_b32 v74, v16, v19
	s_waitcnt lgkmcnt(6)
	v_add_f32_e32 v76, v76, v4
	ds_bpermute_b32 v4, v16, v20
	;; [unrolled: 3-line block ×3, first 2 shown]
	v_cndmask_b32_e64 v20, -v20, v20, s11
	v_add_f32_e32 v11, v11, v83
	s_waitcnt lgkmcnt(6)
	v_add_f32_e32 v22, v22, v5
	v_cndmask_b32_e64 v5, -v12, v12, s11
	s_waitcnt lgkmcnt(5)
	v_add_f32_e32 v12, v18, v79
	ds_bpermute_b32 v18, v16, v29
	s_waitcnt lgkmcnt(5)
	v_add_f32_e32 v75, v75, v81
	ds_bpermute_b32 v81, v16, v17
	;; [unrolled: 3-line block ×3, first 2 shown]
	ds_bpermute_b32 v83, v16, v15
	ds_bpermute_b32 v79, v16, v25
	v_cndmask_b32_e64 v19, -v19, v19, s11
	v_cndmask_b32_e64 v77, -v77, v77, s11
	;; [unrolled: 1-line block ×5, first 2 shown]
	s_waitcnt lgkmcnt(6)
	v_add_f32_e32 v20, v20, v4
	ds_bpermute_b32 v4, v16, v24
	v_add_f32_e32 v19, v19, v74
	s_waitcnt lgkmcnt(6)
	v_add_f32_e32 v74, v77, v84
	ds_bpermute_b32 v77, v16, v26
	ds_bpermute_b32 v84, v16, v30
	v_cndmask_b32_e64 v15, -v15, v15, s11
	v_cndmask_b32_e64 v25, -v25, v25, s11
	s_waitcnt lgkmcnt(7)
	v_add_f32_e32 v18, v29, v18
	v_cndmask_b32_e64 v24, -v24, v24, s11
	ds_bpermute_b32 v29, v16, v28
	s_waitcnt lgkmcnt(7)
	v_add_f32_e32 v17, v17, v81
	s_waitcnt lgkmcnt(6)
	v_add_f32_e32 v21, v21, v5
	ds_bpermute_b32 v5, v16, v34
	ds_bpermute_b32 v81, v16, v23
	s_waitcnt lgkmcnt(7)
	v_add_f32_e32 v15, v15, v83
	ds_bpermute_b32 v83, v16, v27
	s_waitcnt lgkmcnt(7)
	v_add_f32_e32 v25, v25, v79
	ds_bpermute_b32 v79, v16, v36
	v_cndmask_b32_e64 v26, -v26, v26, s11
	v_cndmask_b32_e64 v30, -v30, v30, s11
	s_waitcnt lgkmcnt(7)
	v_add_f32_e32 v24, v24, v4
	ds_bpermute_b32 v4, v16, v32
	v_cndmask_b32_e64 v34, -v34, v34, s11
	s_waitcnt lgkmcnt(7)
	v_add_f32_e32 v26, v26, v77
	ds_bpermute_b32 v77, v16, v35
	s_waitcnt lgkmcnt(7)
	v_add_f32_e32 v30, v30, v84
	v_cndmask_b32_e64 v28, -v28, v28, s11
	ds_bpermute_b32 v84, v16, v33
	v_cndmask_b32_e64 v23, -v23, v23, s11
	v_cndmask_b32_e64 v27, -v27, v27, s11
	;; [unrolled: 1-line block ×3, first 2 shown]
	s_waitcnt lgkmcnt(7)
	v_add_f32_e32 v28, v28, v29
	s_waitcnt lgkmcnt(6)
	v_add_f32_e32 v34, v34, v5
	ds_bpermute_b32 v5, v16, v38
	v_cndmask_b32_e64 v29, -v32, v32, s11
	s_waitcnt lgkmcnt(6)
	v_add_f32_e32 v23, v23, v81
	ds_bpermute_b32 v81, v16, v31
	s_waitcnt lgkmcnt(6)
	v_add_f32_e32 v27, v27, v83
	ds_bpermute_b32 v83, v16, v41
	ds_bpermute_b32 v85, v16, v37
	s_waitcnt lgkmcnt(7)
	v_add_f32_e32 v32, v36, v79
	v_cndmask_b32_e64 v35, -v35, v35, s11
	v_cndmask_b32_e64 v36, -v41, v41, s11
	s_waitcnt lgkmcnt(6)
	v_add_f32_e32 v29, v29, v4
	ds_bpermute_b32 v4, v16, v43
	ds_bpermute_b32 v41, v16, v39
	s_waitcnt lgkmcnt(7)
	v_add_f32_e32 v35, v35, v77
	v_cndmask_b32_e64 v38, -v38, v38, s11
	v_cndmask_b32_e64 v33, -v33, v33, s11
	ds_bpermute_b32 v77, v16, v42
	v_cndmask_b32_e64 v31, -v31, v31, s11
	ds_bpermute_b32 v79, v16, v40
	v_cndmask_b32_e64 v37, -v37, v37, s11
	s_waitcnt lgkmcnt(7)
	v_add_f32_e32 v38, v38, v5
	v_add_f32_e32 v33, v33, v84
	v_cndmask_b32_e64 v5, -v43, v43, s11
	ds_bpermute_b32 v43, v16, v50
	v_xor_b32_e32 v84, 8, v3
	v_cndmask_b32_e64 v39, -v39, v39, s11
	s_waitcnt lgkmcnt(7)
	v_add_f32_e32 v31, v31, v81
	s_waitcnt lgkmcnt(5)
	v_add_f32_e32 v37, v37, v85
	ds_bpermute_b32 v81, v16, v46
	v_cmp_gt_i32_e64 s13, 32, v84
	v_cndmask_b32_e64 v42, -v42, v42, s11
	s_waitcnt lgkmcnt(5)
	v_add_f32_e32 v85, v5, v4
	s_waitcnt lgkmcnt(4)
	v_add_f32_e32 v39, v39, v41
	ds_bpermute_b32 v41, v16, v52
	v_cndmask_b32_e64 v4, v3, v84, s13
	v_add_f32_e32 v36, v36, v83
	ds_bpermute_b32 v83, v16, v48
	ds_bpermute_b32 v5, v16, v44
	s_waitcnt lgkmcnt(6)
	v_add_f32_e32 v42, v42, v77
	ds_bpermute_b32 v77, v16, v49
	v_cndmask_b32_e64 v50, -v50, v50, s11
	v_lshlrev_b32_e32 v4, 2, v4
	v_cndmask_b32_e64 v40, -v40, v40, s11
	v_cndmask_b32_e64 v46, -v46, v46, s11
	;; [unrolled: 1-line block ×3, first 2 shown]
	s_waitcnt lgkmcnt(5)
	v_add_f32_e32 v43, v50, v43
	ds_bpermute_b32 v50, v4, v13
	v_add_f32_e32 v40, v40, v79
	ds_bpermute_b32 v79, v16, v47
	v_and_b32_e32 v84, 8, v0
	v_cndmask_b32_e64 v48, -v48, v48, s11
	s_waitcnt lgkmcnt(6)
	v_add_f32_e32 v46, v46, v81
	v_cndmask_b32_e64 v44, -v44, v44, s11
	v_cndmask_b32_e64 v49, -v49, v49, s11
	ds_bpermute_b32 v81, v4, v45
	s_waitcnt lgkmcnt(6)
	v_add_f32_e32 v41, v52, v41
	ds_bpermute_b32 v52, v4, v55
	v_cmp_eq_u32_e64 s13, 0, v84
	s_waitcnt lgkmcnt(6)
	v_add_f32_e32 v48, v48, v83
	ds_bpermute_b32 v83, v4, v51
	s_waitcnt lgkmcnt(6)
	v_add_f32_e32 v44, v44, v5
	v_cndmask_b32_e64 v5, -v47, v47, s11
	v_cndmask_b32_e64 v13, -v13, v13, s13
	s_waitcnt lgkmcnt(5)
	v_add_f32_e32 v47, v49, v77
	ds_bpermute_b32 v49, v4, v53
	v_cndmask_b32_e64 v45, -v45, v45, s13
	v_cndmask_b32_e64 v55, -v55, v55, s13
	s_waitcnt lgkmcnt(5)
	v_add_f32_e32 v13, v13, v50
	v_cndmask_b32_e64 v50, -v51, v51, s13
	ds_bpermute_b32 v51, v4, v80
	s_waitcnt lgkmcnt(5)
	v_add_f32_e32 v5, v5, v79
	ds_bpermute_b32 v79, v4, v56
	ds_bpermute_b32 v77, v4, v57
	v_cndmask_b32_e64 v53, -v53, v53, s13
	s_waitcnt lgkmcnt(6)
	v_add_f32_e32 v45, v45, v81
	ds_bpermute_b32 v81, v4, v58
	s_waitcnt lgkmcnt(6)
	v_add_f32_e32 v52, v55, v52
	v_cndmask_b32_e64 v55, -v57, v57, s13
	ds_bpermute_b32 v57, v4, v59
	ds_bpermute_b32 v84, v4, v61
	s_waitcnt lgkmcnt(7)
	v_add_f32_e32 v50, v50, v83
	ds_bpermute_b32 v83, v4, v82
	v_cndmask_b32_e64 v56, -v56, v56, s13
	ds_bpermute_b32 v86, v4, v54
	s_waitcnt lgkmcnt(8)
	v_add_f32_e32 v49, v53, v49
	v_cndmask_b32_e64 v53, -v80, v80, s13
	v_cndmask_b32_e64 v58, -v58, v58, s13
	ds_bpermute_b32 v80, v4, v7
	v_cndmask_b32_e64 v59, -v59, v59, s13
	v_cndmask_b32_e64 v61, -v61, v61, s13
	s_waitcnt lgkmcnt(8)
	v_add_f32_e32 v51, v53, v51
	ds_bpermute_b32 v53, v4, v8
	s_waitcnt lgkmcnt(8)
	v_add_f32_e32 v56, v56, v79
	ds_bpermute_b32 v79, v4, v6
	s_waitcnt lgkmcnt(8)
	v_add_f32_e32 v55, v55, v77
	v_cndmask_b32_e64 v77, -v82, v82, s13
	ds_bpermute_b32 v82, v4, v60
	s_waitcnt lgkmcnt(8)
	v_add_f32_e32 v58, v58, v81
	ds_bpermute_b32 v81, v4, v62
	s_waitcnt lgkmcnt(8)
	v_add_f32_e32 v57, v59, v57
	s_waitcnt lgkmcnt(7)
	v_add_f32_e32 v59, v61, v84
	ds_bpermute_b32 v61, v4, v73
	s_waitcnt lgkmcnt(7)
	v_add_f32_e32 v77, v77, v83
	v_cndmask_b32_e64 v8, -v8, v8, s13
	ds_bpermute_b32 v83, v4, v78
	v_cndmask_b32_e64 v54, -v54, v54, s13
	v_cndmask_b32_e64 v7, -v7, v7, s13
	ds_bpermute_b32 v84, v4, v11
	v_cndmask_b32_e64 v6, -v6, v6, s13
	v_cndmask_b32_e64 v60, -v60, v60, s13
	s_waitcnt lgkmcnt(8)
	v_add_f32_e32 v54, v54, v86
	s_waitcnt lgkmcnt(6)
	v_add_f32_e32 v53, v8, v53
	ds_bpermute_b32 v8, v4, v9
	ds_bpermute_b32 v86, v4, v72
	v_add_f32_e32 v80, v7, v80
	v_cndmask_b32_e64 v7, -v62, v62, s13
	s_waitcnt lgkmcnt(7)
	v_add_f32_e32 v79, v6, v79
	v_cndmask_b32_e64 v6, -v73, v73, s13
	ds_bpermute_b32 v73, v4, v76
	s_waitcnt lgkmcnt(7)
	v_add_f32_e32 v60, v60, v82
	ds_bpermute_b32 v62, v4, v75
	ds_bpermute_b32 v82, v4, v10
	s_waitcnt lgkmcnt(8)
	v_add_f32_e32 v81, v7, v81
	v_cndmask_b32_e64 v7, -v78, v78, s13
	s_waitcnt lgkmcnt(7)
	v_add_f32_e32 v61, v6, v61
	ds_bpermute_b32 v6, v4, v14
	v_cndmask_b32_e64 v11, -v11, v11, s13
	v_cndmask_b32_e64 v9, -v9, v9, s13
	s_waitcnt lgkmcnt(7)
	v_add_f32_e32 v78, v7, v83
	ds_bpermute_b32 v7, v4, v22
	v_cndmask_b32_e64 v72, -v72, v72, s13
	s_waitcnt lgkmcnt(7)
	v_add_f32_e32 v83, v11, v84
	ds_bpermute_b32 v11, v4, v12
	ds_bpermute_b32 v84, v4, v63
	s_waitcnt lgkmcnt(8)
	v_add_f32_e32 v87, v9, v8
	v_cndmask_b32_e64 v8, -v76, v76, s13
	s_waitcnt lgkmcnt(7)
	v_add_f32_e32 v72, v72, v86
	v_cndmask_b32_e64 v75, -v75, v75, s13
	v_cndmask_b32_e64 v10, -v10, v10, s13
	ds_bpermute_b32 v86, v4, v17
	v_cndmask_b32_e64 v9, -v14, v14, s13
	ds_bpermute_b32 v14, v4, v15
	s_waitcnt lgkmcnt(8)
	v_add_f32_e32 v73, v8, v73
	ds_bpermute_b32 v8, v4, v20
	s_waitcnt lgkmcnt(8)
	v_add_f32_e32 v62, v75, v62
	s_waitcnt lgkmcnt(7)
	v_add_f32_e32 v75, v10, v82
	v_cndmask_b32_e64 v10, -v22, v22, s13
	s_waitcnt lgkmcnt(6)
	v_add_f32_e32 v76, v9, v6
	ds_bpermute_b32 v6, v4, v74
	v_cndmask_b32_e64 v12, -v12, v12, s13
	ds_bpermute_b32 v22, v4, v19
	v_cndmask_b32_e64 v9, -v63, v63, s13
	s_waitcnt lgkmcnt(7)
	v_add_f32_e32 v63, v10, v7
	ds_bpermute_b32 v7, v4, v18
	v_cndmask_b32_e64 v17, -v17, v17, s13
	s_waitcnt lgkmcnt(7)
	v_add_f32_e32 v82, v12, v11
	s_waitcnt lgkmcnt(6)
	v_add_f32_e32 v84, v9, v84
	ds_bpermute_b32 v9, v4, v21
	v_cndmask_b32_e64 v10, -v15, v15, s13
	v_cndmask_b32_e64 v11, -v20, v20, s13
	ds_bpermute_b32 v12, v4, v25
	s_waitcnt lgkmcnt(7)
	v_add_f32_e32 v86, v17, v86
	ds_bpermute_b32 v15, v4, v23
	v_cndmask_b32_e64 v17, -v19, v19, s13
	v_cndmask_b32_e64 v19, -v74, v74, s13
	s_waitcnt lgkmcnt(7)
	v_add_f32_e32 v14, v10, v14
	ds_bpermute_b32 v10, v4, v24
	s_waitcnt lgkmcnt(7)
	v_add_f32_e32 v74, v11, v8
	ds_bpermute_b32 v8, v4, v26
	v_cndmask_b32_e64 v11, -v18, v18, s13
	s_waitcnt lgkmcnt(7)
	v_add_f32_e32 v89, v19, v6
	ds_bpermute_b32 v6, v4, v27
	ds_bpermute_b32 v18, v4, v30
	s_waitcnt lgkmcnt(8)
	v_add_f32_e32 v88, v17, v22
	v_cndmask_b32_e64 v17, -v21, v21, s13
	s_waitcnt lgkmcnt(7)
	v_add_f32_e32 v90, v11, v7
	v_cndmask_b32_e64 v7, -v25, v25, s13
	v_cndmask_b32_e64 v11, -v23, v23, s13
	;; [unrolled: 1-line block ×3, first 2 shown]
	s_waitcnt lgkmcnt(6)
	v_add_f32_e32 v91, v17, v9
	v_cndmask_b32_e64 v9, -v24, v24, s13
	v_cndmask_b32_e64 v17, -v26, v26, s13
	s_waitcnt lgkmcnt(5)
	v_add_f32_e32 v92, v7, v12
	ds_bpermute_b32 v7, v4, v34
	s_waitcnt lgkmcnt(5)
	v_add_f32_e32 v15, v11, v15
	ds_bpermute_b32 v11, v4, v28
	s_waitcnt lgkmcnt(5)
	v_add_f32_e32 v93, v9, v10
	v_cndmask_b32_e64 v9, -v27, v27, s13
	ds_bpermute_b32 v10, v4, v29
	s_waitcnt lgkmcnt(5)
	v_add_f32_e32 v30, v17, v8
	ds_bpermute_b32 v8, v4, v31
	ds_bpermute_b32 v20, v4, v38
	s_waitcnt lgkmcnt(6)
	v_add_f32_e32 v94, v9, v6
	ds_bpermute_b32 v6, v4, v35
	s_waitcnt lgkmcnt(6)
	v_add_f32_e32 v95, v19, v18
	ds_bpermute_b32 v18, v4, v36
	v_cndmask_b32_e64 v9, -v34, v34, s13
	ds_bpermute_b32 v12, v4, v32
	v_cndmask_b32_e64 v17, -v28, v28, s13
	;; [unrolled: 2-line block ×3, first 2 shown]
	v_cndmask_b32_e64 v19, -v32, v32, s13
	ds_bpermute_b32 v22, v4, v37
	s_waitcnt lgkmcnt(9)
	v_add_f32_e32 v29, v9, v7
	v_cndmask_b32_e64 v7, -v31, v31, s13
	s_waitcnt lgkmcnt(8)
	v_add_f32_e32 v32, v17, v11
	v_cndmask_b32_e64 v9, -v35, v35, s13
	ds_bpermute_b32 v11, v4, v85
	s_waitcnt lgkmcnt(8)
	v_add_f32_e32 v31, v23, v10
	ds_bpermute_b32 v10, v4, v39
	s_waitcnt lgkmcnt(8)
	v_add_f32_e32 v97, v7, v8
	v_cndmask_b32_e64 v7, -v36, v36, s13
	v_xor_b32_e32 v17, 16, v3
	s_waitcnt lgkmcnt(6)
	v_add_f32_e32 v98, v9, v6
	v_cndmask_b32_e64 v6, -v38, v38, s13
	v_cndmask_b32_e64 v8, -v33, v33, s13
	s_waitcnt lgkmcnt(5)
	v_add_f32_e32 v99, v7, v18
	ds_bpermute_b32 v7, v4, v40
	v_cmp_gt_i32_e64 s14, 32, v17
	v_add_f32_e32 v100, v6, v20
	ds_bpermute_b32 v6, v4, v42
	s_waitcnt lgkmcnt(6)
	v_add_f32_e32 v96, v19, v12
	v_cndmask_b32_e64 v9, -v37, v37, s13
	s_waitcnt lgkmcnt(5)
	v_add_f32_e32 v101, v8, v21
	v_cndmask_b32_e64 v8, -v85, v85, s13
	v_cndmask_b32_e64 v12, -v39, v39, s13
	v_cndmask_b32_e64 v3, v3, v17, s14
	s_waitcnt lgkmcnt(4)
	v_add_f32_e32 v102, v9, v22
	ds_bpermute_b32 v9, v4, v43
	ds_bpermute_b32 v18, v4, v46
	s_waitcnt lgkmcnt(5)
	v_add_f32_e32 v85, v8, v11
	ds_bpermute_b32 v8, v4, v48
	s_waitcnt lgkmcnt(5)
	v_add_f32_e32 v103, v12, v10
	v_cndmask_b32_e64 v10, -v40, v40, s13
	v_lshlrev_b32_e32 v104, 2, v3
	v_cndmask_b32_e64 v11, -v42, v42, s13
	ds_bpermute_b32 v19, v4, v47
	v_cndmask_b32_e64 v12, -v43, v43, s13
	s_waitcnt lgkmcnt(5)
	v_add_f32_e32 v3, v10, v7
	ds_bpermute_b32 v7, v4, v44
	ds_bpermute_b32 v20, v104, v13
	s_waitcnt lgkmcnt(6)
	v_add_f32_e32 v105, v11, v6
	v_and_b32_e32 v11, 16, v0
	v_cndmask_b32_e64 v17, -v46, v46, s13
	ds_bpermute_b32 v10, v4, v41
	v_cndmask_b32_e64 v6, -v48, v48, s13
	ds_bpermute_b32 v22, v104, v58
	v_cmp_eq_u32_e64 s14, 0, v11
	s_waitcnt lgkmcnt(7)
	v_add_f32_e32 v106, v12, v9
	s_waitcnt lgkmcnt(6)
	v_add_f32_e32 v107, v17, v18
	ds_bpermute_b32 v9, v104, v45
	s_waitcnt lgkmcnt(6)
	v_add_f32_e32 v108, v6, v8
	v_cndmask_b32_e64 v6, -v44, v44, s13
	ds_bpermute_b32 v12, v104, v54
	ds_bpermute_b32 v17, v104, v52
	v_cndmask_b32_e64 v18, -v47, v47, s13
	v_cndmask_b32_e64 v13, -v13, v13, s14
	ds_bpermute_b32 v11, v104, v50
	v_cndmask_b32_e64 v8, -v41, v41, s13
	s_waitcnt lgkmcnt(7)
	v_add_f32_e32 v109, v6, v7
	v_add_f32_e32 v111, v18, v19
	s_waitcnt lgkmcnt(6)
	v_add_f32_e32 v6, v13, v20
	ds_bpermute_b32 v13, v104, v49
	ds_bpermute_b32 v18, v104, v55
	;; [unrolled: 1-line block ×4, first 2 shown]
	v_cndmask_b32_e64 v21, -v45, v45, s14
	s_waitcnt lgkmcnt(9)
	v_add_f32_e32 v110, v8, v10
	v_cndmask_b32_e64 v10, -v54, v54, s14
	v_cndmask_b32_e64 v23, -v52, v52, s14
	;; [unrolled: 1-line block ×3, first 2 shown]
	s_waitcnt lgkmcnt(7)
	v_add_f32_e32 v7, v21, v9
	v_cndmask_b32_e64 v21, -v49, v49, s14
	s_waitcnt lgkmcnt(6)
	v_add_f32_e32 v9, v10, v12
	s_waitcnt lgkmcnt(5)
	v_add_f32_e32 v10, v23, v17
	v_cndmask_b32_e64 v12, -v55, v55, s14
	ds_bpermute_b32 v23, v104, v77
	ds_bpermute_b32 v24, v104, v57
	v_cndmask_b32_e64 v17, -v51, v51, s14
	v_cndmask_b32_e64 v27, -v56, v56, s14
	;; [unrolled: 1-line block ×3, first 2 shown]
	s_waitcnt lgkmcnt(6)
	v_add_f32_e32 v8, v8, v11
	s_waitcnt lgkmcnt(5)
	v_add_f32_e32 v11, v21, v13
	;; [unrolled: 2-line block ×5, first 2 shown]
	v_add_f32_e32 v18, v28, v22
	ds_bpermute_b32 v27, v104, v80
	ds_bpermute_b32 v28, v104, v60
	;; [unrolled: 1-line block ×6, first 2 shown]
	v_cndmask_b32_e64 v19, -v77, v77, s14
	v_cndmask_b32_e64 v20, -v57, v57, s14
	ds_bpermute_b32 v34, v104, v79
	ds_bpermute_b32 v39, v104, v87
	;; [unrolled: 1-line block ×4, first 2 shown]
	s_waitcnt lgkmcnt(11)
	v_add_f32_e32 v19, v19, v23
	s_waitcnt lgkmcnt(10)
	v_add_f32_e32 v20, v20, v24
	v_cndmask_b32_e64 v23, -v80, v80, s14
	v_cndmask_b32_e64 v24, -v60, v60, s14
	ds_bpermute_b32 v38, v104, v83
	ds_bpermute_b32 v43, v104, v76
	;; [unrolled: 1-line block ×4, first 2 shown]
	v_cndmask_b32_e64 v22, -v53, v53, s14
	ds_bpermute_b32 v37, v104, v78
	s_waitcnt lgkmcnt(14)
	v_add_f32_e32 v23, v23, v27
	s_waitcnt lgkmcnt(13)
	v_add_f32_e32 v24, v24, v28
	v_cndmask_b32_e64 v27, -v81, v81, s14
	v_cndmask_b32_e64 v28, -v61, v61, s14
	ds_bpermute_b32 v42, v104, v73
	ds_bpermute_b32 v47, v104, v86
	v_cndmask_b32_e64 v21, -v59, v59, s14
	s_waitcnt lgkmcnt(14)
	v_add_f32_e32 v22, v22, v26
	v_cndmask_b32_e64 v26, -v79, v79, s14
	ds_bpermute_b32 v41, v104, v75
	s_waitcnt lgkmcnt(14)
	v_add_f32_e32 v27, v27, v35
	s_waitcnt lgkmcnt(13)
	v_add_f32_e32 v28, v28, v36
	v_cndmask_b32_e64 v35, -v87, v87, s14
	v_cndmask_b32_e64 v36, -v62, v62, s14
	ds_bpermute_b32 v46, v104, v84
	ds_bpermute_b32 v51, v104, v89
	;; [unrolled: 1-line block ×3, first 2 shown]
	s_waitcnt lgkmcnt(15)
	v_add_f32_e32 v21, v21, v25
	v_cndmask_b32_e64 v25, -v72, v72, s14
	s_waitcnt lgkmcnt(14)
	v_add_f32_e32 v26, v26, v34
	v_cndmask_b32_e64 v34, -v83, v83, s14
	ds_bpermute_b32 v45, v104, v82
	s_waitcnt lgkmcnt(14)
	v_add_f32_e32 v35, v35, v39
	s_waitcnt lgkmcnt(13)
	v_add_f32_e32 v36, v36, v40
	v_cndmask_b32_e64 v39, -v76, v76, s14
	v_cndmask_b32_e64 v40, -v63, v63, s14
	ds_bpermute_b32 v50, v104, v88
	v_cndmask_b32_e64 v14, -v14, v14, s14
	s_waitcnt lgkmcnt(13)
	v_add_f32_e32 v25, v25, v33
	v_cndmask_b32_e64 v33, -v78, v78, s14
	s_waitcnt lgkmcnt(12)
	v_add_f32_e32 v34, v34, v38
	v_cndmask_b32_e64 v38, -v73, v73, s14
	ds_bpermute_b32 v49, v104, v74
	s_waitcnt lgkmcnt(12)
	v_add_f32_e32 v39, v39, v43
	s_waitcnt lgkmcnt(11)
	v_add_f32_e32 v40, v40, v44
	v_cndmask_b32_e64 v43, -v86, v86, s14
	s_waitcnt lgkmcnt(10)
	v_add_f32_e32 v44, v14, v48
	ds_bpermute_b32 v14, v104, v92
	s_waitcnt lgkmcnt(10)
	v_add_f32_e32 v33, v33, v37
	v_cndmask_b32_e64 v37, -v75, v75, s14
	s_waitcnt lgkmcnt(9)
	v_add_f32_e32 v38, v38, v42
	v_cndmask_b32_e64 v42, -v84, v84, s14
	ds_bpermute_b32 v52, v104, v90
	ds_bpermute_b32 v53, v104, v91
	s_waitcnt lgkmcnt(10)
	v_add_f32_e32 v43, v43, v47
	ds_bpermute_b32 v56, v104, v30
	v_cndmask_b32_e64 v47, -v89, v89, s14
	ds_bpermute_b32 v57, v104, v94
	v_cndmask_b32_e64 v15, -v15, v15, s14
	ds_bpermute_b32 v59, v104, v29
	s_waitcnt lgkmcnt(12)
	v_add_f32_e32 v37, v37, v41
	v_cndmask_b32_e64 v41, -v82, v82, s14
	s_waitcnt lgkmcnt(11)
	v_add_f32_e32 v42, v42, v46
	v_cndmask_b32_e64 v46, -v88, v88, s14
	ds_bpermute_b32 v55, v104, v93
	s_waitcnt lgkmcnt(11)
	v_add_f32_e32 v47, v47, v51
	ds_bpermute_b32 v58, v104, v95
	s_waitcnt lgkmcnt(11)
	v_add_f32_e32 v51, v15, v54
	ds_bpermute_b32 v15, v104, v96
	ds_bpermute_b32 v61, v104, v31
	s_waitcnt lgkmcnt(12)
	v_add_f32_e32 v41, v41, v45
	v_cndmask_b32_e64 v45, -v74, v74, s14
	s_waitcnt lgkmcnt(11)
	v_add_f32_e32 v46, v46, v50
	v_cndmask_b32_e64 v50, -v92, v92, s14
	ds_bpermute_b32 v62, v104, v97
	v_cndmask_b32_e64 v48, -v90, v90, s14
	s_waitcnt lgkmcnt(11)
	v_add_f32_e32 v45, v45, v49
	v_cndmask_b32_e64 v49, -v91, v91, s14
	ds_bpermute_b32 v60, v104, v32
	v_cndmask_b32_e64 v30, -v30, v30, s14
	s_waitcnt lgkmcnt(11)
	v_add_f32_e32 v50, v50, v14
	v_cndmask_b32_e64 v14, -v94, v94, s14
	v_cndmask_b32_e64 v29, -v29, v29, s14
	s_waitcnt lgkmcnt(10)
	v_add_f32_e32 v48, v48, v52
	s_waitcnt lgkmcnt(9)
	v_add_f32_e32 v49, v49, v53
	v_cndmask_b32_e64 v52, -v93, v93, s14
	s_waitcnt lgkmcnt(8)
	v_add_f32_e32 v53, v30, v56
	v_cndmask_b32_e64 v30, -v95, v95, s14
	ds_bpermute_b32 v77, v104, v99
	s_waitcnt lgkmcnt(8)
	v_add_f32_e32 v54, v14, v57
	v_cndmask_b32_e64 v14, -v96, v96, s14
	s_waitcnt lgkmcnt(7)
	v_add_f32_e32 v56, v29, v59
	v_cndmask_b32_e64 v29, -v31, v31, s14
	ds_bpermute_b32 v4, v4, v5
	s_waitcnt lgkmcnt(7)
	v_add_f32_e32 v52, v52, v55
	s_waitcnt lgkmcnt(6)
	v_add_f32_e32 v55, v30, v58
	v_cndmask_b32_e64 v30, -v97, v97, s14
	ds_bpermute_b32 v57, v104, v100
	s_waitcnt lgkmcnt(6)
	v_add_f32_e32 v73, v14, v15
	s_waitcnt lgkmcnt(5)
	v_add_f32_e32 v74, v29, v61
	ds_bpermute_b32 v15, v104, v3
	ds_bpermute_b32 v29, v104, v105
	;; [unrolled: 1-line block ×3, first 2 shown]
	v_cndmask_b32_e64 v32, -v32, v32, s14
	s_waitcnt lgkmcnt(7)
	v_add_f32_e32 v75, v30, v62
	ds_bpermute_b32 v14, v104, v103
	ds_bpermute_b32 v30, v104, v106
	v_cndmask_b32_e64 v5, -v5, v5, s13
	s_waitcnt lgkmcnt(8)
	v_add_f32_e32 v72, v32, v60
	v_cndmask_b32_e64 v32, -v99, v99, s14
	ds_bpermute_b32 v60, v104, v85
	v_cndmask_b32_e64 v3, -v3, v3, s14
	v_cndmask_b32_e64 v31, -v98, v98, s14
	s_waitcnt lgkmcnt(7)
	v_add_f32_e32 v84, v5, v4
	v_add_f32_e32 v77, v32, v77
	v_cndmask_b32_e64 v32, -v100, v100, s14
	v_cndmask_b32_e64 v5, -v105, v105, s14
	;; [unrolled: 1-line block ×3, first 2 shown]
	ds_bpermute_b32 v58, v104, v101
	ds_bpermute_b32 v59, v104, v102
	s_waitcnt lgkmcnt(8)
	v_add_f32_e32 v78, v32, v57
	v_cndmask_b32_e64 v32, -v106, v106, s14
	s_waitcnt lgkmcnt(7)
	v_add_f32_e32 v83, v3, v15
	s_waitcnt lgkmcnt(6)
	v_add_f32_e32 v3, v5, v29
	v_and_b32_e32 v15, 7, v0
	v_lshrrev_b32_e32 v29, 3, v0
	s_waitcnt lgkmcnt(5)
	v_add_f32_e32 v76, v31, v63
	ds_bpermute_b32 v31, v104, v107
	s_waitcnt lgkmcnt(5)
	v_add_f32_e32 v82, v4, v14
	s_waitcnt lgkmcnt(4)
	v_add_f32_e32 v4, v32, v30
	v_lshrrev_b32_e32 v32, 5, v0
	v_lshl_or_b32 v29, v15, 5, v29
	v_cndmask_b32_e64 v63, -v85, v85, s14
	v_cndmask_b32_e64 v61, -v101, v101, s14
	;; [unrolled: 1-line block ×3, first 2 shown]
	v_xor_b32_e32 v0, v32, v0
	v_xor_b32_e32 v15, v29, v15
	s_waitcnt lgkmcnt(3)
	v_add_f32_e32 v81, v63, v60
	s_waitcnt lgkmcnt(0)
	s_barrier
	v_lshl_add_u32 v60, v0, 4, 0
	v_lshl_add_u32 v32, v15, 4, 0
	buffer_gl0_inv
	ds_write_b128 v60, v[6:9]
	ds_write_b128 v60, v[10:13] offset:4096
	ds_write_b128 v60, v[17:20] offset:8192
	;; [unrolled: 1-line block ×7, first 2 shown]
	s_waitcnt lgkmcnt(0)
	s_barrier
	buffer_gl0_inv
	ds_read_b128 v[7:10], v32
	v_add_f32_e32 v79, v61, v58
	v_add_f32_e32 v5, v57, v31
	ds_bpermute_b32 v14, v104, v108
	ds_bpermute_b32 v31, v104, v109
	;; [unrolled: 1-line block ×3, first 2 shown]
	v_cndmask_b32_e64 v62, -v102, v102, s14
	ds_bpermute_b32 v58, v104, v110
	v_cndmask_b32_e64 v63, -v84, v84, s14
	v_cndmask_b32_e64 v30, -v108, v108, s14
	;; [unrolled: 1-line block ×3, first 2 shown]
	v_add_f32_e32 v80, v62, v59
	ds_bpermute_b32 v62, v104, v84
	ds_read_b128 v[17:20], v32 offset:4096
	ds_read_b128 v[21:24], v32 offset:8192
	;; [unrolled: 1-line block ×7, first 2 shown]
	v_cndmask_b32_e64 v29, -v111, v111, s14
	v_cndmask_b32_e64 v59, -v110, v110, s14
	s_waitcnt lgkmcnt(0)
	s_barrier
	buffer_gl0_inv
	ds_write_b128 v60, v[45:48]
	ds_write_b128 v60, v[49:52] offset:4096
	ds_write_b128 v60, v[53:56] offset:8192
	;; [unrolled: 1-line block ×3, first 2 shown]
	ds_bpermute_b32 v0, v2, v7
	ds_bpermute_b32 v15, v2, v8
	v_cndmask_b32_e64 v7, -v7, v7, s12
	v_add_f32_e32 v6, v30, v14
	v_add_f32_e32 v11, v57, v31
	;; [unrolled: 1-line block ×3, first 2 shown]
	ds_bpermute_b32 v29, v2, v9
	ds_bpermute_b32 v30, v2, v10
	;; [unrolled: 1-line block ×3, first 2 shown]
	v_add_f32_e32 v12, v59, v58
	ds_bpermute_b32 v59, v2, v21
	ds_bpermute_b32 v61, v2, v22
	;; [unrolled: 1-line block ×4, first 2 shown]
	v_add_f32_e32 v14, v63, v62
	ds_bpermute_b32 v62, v2, v23
	ds_write_b128 v60, v[76:79] offset:16384
	ds_write_b128 v60, v[80:83] offset:20480
	;; [unrolled: 1-line block ×4, first 2 shown]
	s_waitcnt lgkmcnt(0)
	s_barrier
	buffer_gl0_inv
	v_add_f32_e32 v0, v7, v0
	v_cndmask_b32_e64 v7, -v8, v8, s12
	v_cndmask_b32_e64 v8, -v9, v9, s12
	;; [unrolled: 1-line block ×5, first 2 shown]
	ds_bpermute_b32 v18, v2, v19
	v_add_f32_e32 v15, v7, v15
	v_add_f32_e32 v29, v8, v29
	;; [unrolled: 1-line block ×4, first 2 shown]
	v_cndmask_b32_e64 v7, -v19, v19, s12
	v_cndmask_b32_e64 v8, -v20, v20, s12
	;; [unrolled: 1-line block ×5, first 2 shown]
	ds_bpermute_b32 v20, v2, v24
	ds_bpermute_b32 v21, v2, v25
	ds_bpermute_b32 v22, v2, v26
	ds_bpermute_b32 v23, v2, v27
	v_add_f32_e32 v59, v9, v59
	v_add_f32_e32 v61, v10, v61
	v_cndmask_b32_e64 v9, -v26, v26, s12
	v_cndmask_b32_e64 v10, -v27, v27, s12
	ds_bpermute_b32 v26, v2, v34
	ds_bpermute_b32 v27, v2, v35
	v_add_f32_e32 v17, v17, v57
	ds_bpermute_b32 v57, v2, v28
	s_waitcnt lgkmcnt(7)
	v_add_f32_e32 v18, v7, v18
	v_add_f32_e32 v58, v8, v58
	v_cndmask_b32_e64 v7, -v24, v24, s12
	v_cndmask_b32_e64 v8, -v25, v25, s12
	;; [unrolled: 1-line block ×3, first 2 shown]
	ds_bpermute_b32 v25, v2, v33
	ds_bpermute_b32 v28, v2, v36
	v_add_f32_e32 v19, v19, v62
	ds_bpermute_b32 v62, v2, v37
	s_waitcnt lgkmcnt(9)
	v_add_f32_e32 v20, v7, v20
	s_waitcnt lgkmcnt(8)
	v_add_f32_e32 v21, v8, v21
	;; [unrolled: 2-line block ×4, first 2 shown]
	v_cndmask_b32_e64 v7, -v33, v33, s12
	v_cndmask_b32_e64 v8, -v34, v34, s12
	v_cndmask_b32_e64 v9, -v35, v35, s12
	v_cndmask_b32_e64 v10, -v36, v36, s12
	v_cndmask_b32_e64 v33, -v37, v37, s12
	ds_bpermute_b32 v34, v2, v38
	ds_bpermute_b32 v35, v2, v39
	;; [unrolled: 1-line block ×4, first 2 shown]
	ds_read_b128 v[3:6], v32
	ds_read_b128 v[11:14], v32 offset:4096
	s_waitcnt lgkmcnt(11)
	v_add_f32_e32 v26, v8, v26
	s_waitcnt lgkmcnt(10)
	v_add_f32_e32 v27, v9, v27
	v_cndmask_b32_e64 v8, -v39, v39, s12
	v_cndmask_b32_e64 v9, -v40, v40, s12
	ds_bpermute_b32 v39, v2, v43
	ds_bpermute_b32 v40, v2, v44
	s_waitcnt lgkmcnt(11)
	v_add_f32_e32 v24, v24, v57
	ds_bpermute_b32 v57, v2, v42
	s_waitcnt lgkmcnt(11)
	v_add_f32_e32 v25, v7, v25
	s_waitcnt lgkmcnt(10)
	v_add_f32_e32 v28, v10, v28
	v_cndmask_b32_e64 v7, -v38, v38, s12
	v_cndmask_b32_e64 v10, -v41, v41, s12
	ds_bpermute_b32 v41, v2, v84
	v_cndmask_b32_e64 v38, -v42, v42, s12
	ds_bpermute_b32 v42, v2, v85
	s_waitcnt lgkmcnt(10)
	v_add_f32_e32 v34, v7, v34
	s_waitcnt lgkmcnt(9)
	v_add_f32_e32 v35, v8, v35
	s_waitcnt lgkmcnt(8)
	v_add_f32_e32 v36, v9, v36
	s_waitcnt lgkmcnt(7)
	v_add_f32_e32 v37, v10, v37
	v_cndmask_b32_e64 v7, -v43, v43, s12
	v_cndmask_b32_e64 v8, -v44, v44, s12
	ds_bpermute_b32 v9, v2, v87
	s_waitcnt lgkmcnt(7)
	ds_bpermute_b32 v10, v2, v3
	ds_bpermute_b32 v43, v2, v4
	ds_read_b128 v[45:48], v32 offset:8192
	ds_read_b128 v[49:52], v32 offset:12288
	;; [unrolled: 1-line block ×4, first 2 shown]
	v_add_f32_e32 v33, v33, v62
	ds_bpermute_b32 v62, v2, v86
	s_waitcnt lgkmcnt(12)
	v_add_f32_e32 v39, v7, v39
	s_waitcnt lgkmcnt(11)
	v_add_f32_e32 v40, v8, v40
	ds_bpermute_b32 v7, v2, v11
	ds_bpermute_b32 v8, v2, v12
	s_waitcnt lgkmcnt(12)
	v_add_f32_e32 v38, v38, v57
	ds_bpermute_b32 v44, v2, v5
	ds_bpermute_b32 v57, v2, v6
	v_cndmask_b32_e64 v63, -v84, v84, s12
	v_cndmask_b32_e64 v76, -v85, v85, s12
	;; [unrolled: 1-line block ×5, first 2 shown]
	s_waitcnt lgkmcnt(13)
	v_add_f32_e32 v41, v63, v41
	v_cndmask_b32_e64 v63, -v87, v87, s12
	s_waitcnt lgkmcnt(12)
	v_add_f32_e32 v42, v76, v42
	s_waitcnt lgkmcnt(10)
	v_add_f32_e32 v76, v3, v10
	s_waitcnt lgkmcnt(9)
	v_add_f32_e32 v43, v4, v43
	v_cndmask_b32_e64 v3, -v11, v11, s12
	v_add_f32_e32 v63, v63, v9
	v_cndmask_b32_e64 v4, -v12, v12, s12
	ds_bpermute_b32 v9, v2, v13
	ds_bpermute_b32 v10, v2, v14
	s_waitcnt lgkmcnt(10)
	ds_bpermute_b32 v12, v2, v46
	ds_bpermute_b32 v78, v2, v48
	s_waitcnt lgkmcnt(8)
	v_add_f32_e32 v62, v77, v62
	v_cndmask_b32_e64 v5, -v5, v5, s12
	v_cndmask_b32_e64 v6, -v6, v6, s12
	ds_bpermute_b32 v11, v2, v45
	ds_bpermute_b32 v77, v2, v47
	s_waitcnt lgkmcnt(9)
	v_add_f32_e32 v79, v3, v7
	s_waitcnt lgkmcnt(8)
	v_add_f32_e32 v80, v4, v8
	v_cndmask_b32_e64 v7, -v13, v13, s12
	v_cndmask_b32_e64 v8, -v14, v14, s12
	;; [unrolled: 1-line block ×4, first 2 shown]
	ds_bpermute_b32 v45, v2, v49
	ds_bpermute_b32 v46, v2, v50
	;; [unrolled: 1-line block ×4, first 2 shown]
	s_waitcnt lgkmcnt(11)
	v_add_f32_e32 v44, v5, v44
	s_waitcnt lgkmcnt(10)
	v_add_f32_e32 v57, v6, v57
	ds_bpermute_b32 v83, v2, v53
	ds_read_b128 v[3:6], v32 offset:24576
	v_cndmask_b32_e64 v48, -v48, v48, s12
	v_cndmask_b32_e64 v47, -v47, v47, s12
	s_waitcnt lgkmcnt(11)
	v_add_f32_e32 v84, v7, v9
	s_waitcnt lgkmcnt(10)
	v_add_f32_e32 v85, v8, v10
	;; [unrolled: 2-line block ×4, first 2 shown]
	v_cndmask_b32_e64 v7, -v49, v49, s12
	v_cndmask_b32_e64 v8, -v50, v50, s12
	;; [unrolled: 1-line block ×4, first 2 shown]
	ds_bpermute_b32 v48, v2, v54
	ds_bpermute_b32 v50, v2, v55
	s_waitcnt lgkmcnt(9)
	v_add_f32_e32 v11, v13, v11
	s_waitcnt lgkmcnt(8)
	v_add_f32_e32 v13, v47, v77
	v_cndmask_b32_e64 v47, -v53, v53, s12
	s_waitcnt lgkmcnt(7)
	v_add_f32_e32 v45, v7, v45
	s_waitcnt lgkmcnt(6)
	v_add_f32_e32 v46, v8, v46
	;; [unrolled: 2-line block ×4, first 2 shown]
	ds_read_b128 v[7:10], v32 offset:28672
	ds_bpermute_b32 v52, v2, v56
	ds_bpermute_b32 v53, v2, v72
	;; [unrolled: 1-line block ×5, first 2 shown]
	s_waitcnt lgkmcnt(9)
	v_add_f32_e32 v47, v47, v83
	s_waitcnt lgkmcnt(8)
	ds_bpermute_b32 v82, v2, v3
	ds_bpermute_b32 v83, v2, v5
	v_cndmask_b32_e64 v54, -v54, v54, s12
	v_cndmask_b32_e64 v55, -v55, v55, s12
	v_cndmask_b32_e64 v56, -v56, v56, s12
	v_cndmask_b32_e64 v72, -v72, v72, s12
	v_cndmask_b32_e64 v73, -v73, v73, s12
	v_cndmask_b32_e64 v74, -v74, v74, s12
	v_cndmask_b32_e64 v75, -v75, v75, s12
	s_waitcnt lgkmcnt(9)
	v_add_f32_e32 v48, v54, v48
	ds_bpermute_b32 v54, v2, v4
	s_waitcnt lgkmcnt(9)
	v_add_f32_e32 v50, v55, v50
	ds_bpermute_b32 v55, v2, v6
	s_waitcnt lgkmcnt(9)
	ds_bpermute_b32 v86, v2, v7
	s_waitcnt lgkmcnt(9)
	v_add_f32_e32 v52, v56, v52
	s_waitcnt lgkmcnt(8)
	v_add_f32_e32 v53, v72, v53
	v_cndmask_b32_e64 v3, -v3, v3, s12
	s_waitcnt lgkmcnt(7)
	v_add_f32_e32 v56, v73, v77
	s_waitcnt lgkmcnt(6)
	v_add_f32_e32 v72, v74, v78
	;; [unrolled: 2-line block ×3, first 2 shown]
	ds_bpermute_b32 v74, v2, v8
	v_cndmask_b32_e64 v5, -v5, v5, s12
	ds_bpermute_b32 v75, v2, v9
	ds_bpermute_b32 v77, v2, v10
	;; [unrolled: 1-line block ×3, first 2 shown]
	s_waitcnt lgkmcnt(8)
	v_add_f32_e32 v81, v3, v82
	v_cndmask_b32_e64 v2, -v6, v6, s12
	v_cndmask_b32_e64 v3, -v7, v7, s12
	s_waitcnt lgkmcnt(7)
	v_add_f32_e32 v5, v5, v83
	v_cndmask_b32_e64 v6, -v8, v8, s12
	ds_bpermute_b32 v7, v1, v15
	ds_bpermute_b32 v8, v1, v29
	;; [unrolled: 1-line block ×4, first 2 shown]
	v_cndmask_b32_e64 v4, -v4, v4, s12
	v_cndmask_b32_e64 v29, -v29, v29, s10
	;; [unrolled: 1-line block ×4, first 2 shown]
	s_waitcnt lgkmcnt(0)
	v_add_f32_e32 v4, v4, v54
	v_add_f32_e32 v54, v2, v55
	v_cndmask_b32_e64 v2, -v9, v9, s12
	v_cndmask_b32_e64 v9, -v10, v10, s12
	;; [unrolled: 1-line block ×3, first 2 shown]
	v_add_f32_e32 v55, v3, v86
	v_add_f32_e32 v3, v6, v74
	ds_bpermute_b32 v6, v1, v17
	v_add_f32_e32 v2, v2, v75
	v_add_f32_e32 v0, v9, v77
	;; [unrolled: 1-line block ×3, first 2 shown]
	v_cndmask_b32_e64 v10, -v15, v15, s10
	ds_bpermute_b32 v15, v1, v18
	ds_bpermute_b32 v74, v1, v58
	;; [unrolled: 1-line block ×3, first 2 shown]
	v_add_f32_e32 v8, v29, v8
	v_add_f32_e32 v7, v10, v7
	;; [unrolled: 1-line block ×4, first 2 shown]
	ds_bpermute_b32 v30, v1, v61
	ds_bpermute_b32 v31, v1, v19
	;; [unrolled: 1-line block ×4, first 2 shown]
	v_cndmask_b32_e64 v17, -v17, v17, s10
	v_cndmask_b32_e64 v18, -v18, v18, s10
	;; [unrolled: 1-line block ×5, first 2 shown]
	s_waitcnt lgkmcnt(7)
	v_add_f32_e32 v6, v17, v6
	ds_bpermute_b32 v17, v1, v22
	v_cndmask_b32_e64 v20, -v20, v20, s10
	v_cndmask_b32_e64 v21, -v21, v21, s10
	s_waitcnt lgkmcnt(7)
	v_add_f32_e32 v15, v18, v15
	s_waitcnt lgkmcnt(6)
	v_add_f32_e32 v18, v58, v74
	;; [unrolled: 2-line block ×3, first 2 shown]
	v_cndmask_b32_e64 v59, -v61, v61, s10
	ds_bpermute_b32 v61, v1, v23
	ds_bpermute_b32 v74, v1, v24
	;; [unrolled: 1-line block ×3, first 2 shown]
	v_cndmask_b32_e64 v22, -v22, v22, s10
	s_waitcnt lgkmcnt(7)
	v_add_f32_e32 v30, v59, v30
	s_waitcnt lgkmcnt(6)
	v_add_f32_e32 v19, v19, v31
	;; [unrolled: 2-line block ×4, first 2 shown]
	ds_bpermute_b32 v31, v1, v26
	ds_bpermute_b32 v59, v1, v27
	ds_bpermute_b32 v77, v1, v28
	ds_bpermute_b32 v78, v1, v33
	v_cndmask_b32_e64 v23, -v23, v23, s10
	v_cndmask_b32_e64 v24, -v24, v24, s10
	;; [unrolled: 1-line block ×3, first 2 shown]
	s_waitcnt lgkmcnt(7)
	v_add_f32_e32 v17, v22, v17
	ds_bpermute_b32 v22, v1, v34
	v_cndmask_b32_e64 v26, -v26, v26, s10
	v_cndmask_b32_e64 v27, -v27, v27, s10
	;; [unrolled: 1-line block ×3, first 2 shown]
	s_waitcnt lgkmcnt(7)
	v_add_f32_e32 v23, v23, v61
	s_waitcnt lgkmcnt(6)
	v_add_f32_e32 v24, v24, v74
	;; [unrolled: 2-line block ×3, first 2 shown]
	ds_bpermute_b32 v61, v1, v35
	ds_bpermute_b32 v74, v1, v36
	;; [unrolled: 1-line block ×3, first 2 shown]
	v_cndmask_b32_e64 v33, -v33, v33, s10
	v_cndmask_b32_e64 v34, -v34, v34, s10
	s_waitcnt lgkmcnt(7)
	v_add_f32_e32 v26, v26, v31
	s_waitcnt lgkmcnt(6)
	v_add_f32_e32 v27, v27, v59
	;; [unrolled: 2-line block ×4, first 2 shown]
	ds_bpermute_b32 v33, v1, v38
	ds_bpermute_b32 v59, v1, v39
	;; [unrolled: 1-line block ×4, first 2 shown]
	v_cndmask_b32_e64 v35, -v35, v35, s10
	v_cndmask_b32_e64 v36, -v36, v36, s10
	;; [unrolled: 1-line block ×3, first 2 shown]
	s_waitcnt lgkmcnt(7)
	v_add_f32_e32 v34, v34, v22
	ds_bpermute_b32 v22, v1, v42
	v_cndmask_b32_e64 v38, -v38, v38, s10
	v_cndmask_b32_e64 v39, -v39, v39, s10
	s_waitcnt lgkmcnt(7)
	v_add_f32_e32 v35, v35, v61
	s_waitcnt lgkmcnt(6)
	v_add_f32_e32 v36, v36, v74
	;; [unrolled: 2-line block ×3, first 2 shown]
	ds_bpermute_b32 v61, v1, v62
	ds_bpermute_b32 v74, v1, v63
	;; [unrolled: 1-line block ×3, first 2 shown]
	v_cndmask_b32_e64 v40, -v40, v40, s10
	v_cndmask_b32_e64 v41, -v41, v41, s10
	v_cndmask_b32_e64 v42, -v42, v42, s10
	s_waitcnt lgkmcnt(7)
	v_add_f32_e32 v33, v38, v33
	s_waitcnt lgkmcnt(6)
	v_add_f32_e32 v38, v39, v59
	;; [unrolled: 2-line block ×4, first 2 shown]
	ds_bpermute_b32 v41, v1, v43
	ds_bpermute_b32 v59, v1, v44
	ds_bpermute_b32 v77, v1, v57
	ds_bpermute_b32 v78, v1, v79
	v_cndmask_b32_e64 v62, -v62, v62, s10
	v_cndmask_b32_e64 v63, -v63, v63, s10
	;; [unrolled: 1-line block ×3, first 2 shown]
	s_waitcnt lgkmcnt(7)
	v_add_f32_e32 v42, v42, v22
	ds_bpermute_b32 v22, v1, v80
	v_cndmask_b32_e64 v43, -v43, v43, s10
	s_waitcnt lgkmcnt(7)
	v_add_f32_e32 v61, v62, v61
	s_waitcnt lgkmcnt(6)
	v_add_f32_e32 v62, v63, v74
	;; [unrolled: 2-line block ×3, first 2 shown]
	ds_bpermute_b32 v75, v1, v85
	ds_bpermute_b32 v76, v1, v11
	v_cndmask_b32_e64 v44, -v44, v44, s10
	v_cndmask_b32_e64 v57, -v57, v57, s10
	v_cndmask_b32_e64 v79, -v79, v79, s10
	ds_bpermute_b32 v74, v1, v84
	v_cndmask_b32_e64 v80, -v80, v80, s10
	s_waitcnt lgkmcnt(7)
	v_add_f32_e32 v41, v43, v41
	s_waitcnt lgkmcnt(6)
	v_add_f32_e32 v43, v44, v59
	;; [unrolled: 2-line block ×4, first 2 shown]
	ds_bpermute_b32 v59, v1, v12
	ds_bpermute_b32 v77, v1, v13
	;; [unrolled: 1-line block ×4, first 2 shown]
	v_cndmask_b32_e64 v83, -v85, v85, s10
	v_cndmask_b32_e64 v11, -v11, v11, s10
	s_waitcnt lgkmcnt(7)
	v_add_f32_e32 v80, v80, v22
	ds_bpermute_b32 v22, v1, v46
	v_cndmask_b32_e64 v13, -v13, v13, s10
	s_waitcnt lgkmcnt(7)
	v_add_f32_e32 v75, v83, v75
	s_waitcnt lgkmcnt(6)
	v_add_f32_e32 v76, v11, v76
	v_cndmask_b32_e64 v11, -v12, v12, s10
	ds_bpermute_b32 v12, v1, v49
	ds_bpermute_b32 v83, v1, v47
	v_cndmask_b32_e64 v14, -v14, v14, s10
	v_cndmask_b32_e64 v82, -v84, v84, s10
	;; [unrolled: 1-line block ×6, first 2 shown]
	s_waitcnt lgkmcnt(6)
	v_add_f32_e32 v59, v11, v59
	s_waitcnt lgkmcnt(5)
	v_add_f32_e32 v77, v13, v77
	;; [unrolled: 2-line block ×3, first 2 shown]
	ds_bpermute_b32 v11, v1, v48
	ds_bpermute_b32 v13, v1, v50
	;; [unrolled: 1-line block ×3, first 2 shown]
	v_add_f32_e32 v74, v82, v74
	ds_bpermute_b32 v82, v1, v51
	s_waitcnt lgkmcnt(7)
	v_add_f32_e32 v79, v45, v79
	ds_bpermute_b32 v45, v1, v53
	s_waitcnt lgkmcnt(7)
	;; [unrolled: 3-line block ×3, first 2 shown]
	v_add_f32_e32 v85, v49, v12
	s_waitcnt lgkmcnt(6)
	v_add_f32_e32 v83, v47, v83
	v_cndmask_b32_e64 v12, -v48, v48, s10
	ds_bpermute_b32 v46, v1, v72
	ds_bpermute_b32 v47, v1, v73
	v_cndmask_b32_e64 v49, -v50, v50, s10
	v_cndmask_b32_e64 v50, -v52, v52, s10
	;; [unrolled: 1-line block ×4, first 2 shown]
	ds_bpermute_b32 v48, v1, v81
	s_barrier
	s_waitcnt lgkmcnt(8)
	v_add_f32_e32 v56, v12, v11
	s_waitcnt lgkmcnt(7)
	v_add_f32_e32 v86, v49, v13
	;; [unrolled: 2-line block ×3, first 2 shown]
	ds_bpermute_b32 v11, v1, v4
	ds_bpermute_b32 v12, v1, v5
	;; [unrolled: 1-line block ×4, first 2 shown]
	s_waitcnt lgkmcnt(9)
	v_add_f32_e32 v82, v51, v82
	v_cndmask_b32_e64 v51, -v53, v53, s10
	v_cndmask_b32_e64 v49, -v73, v73, s10
	;; [unrolled: 1-line block ×5, first 2 shown]
	s_waitcnt lgkmcnt(8)
	v_add_f32_e32 v88, v51, v45
	v_cndmask_b32_e64 v45, -v72, v72, s10
	s_waitcnt lgkmcnt(7)
	v_add_f32_e32 v72, v52, v22
	ds_bpermute_b32 v22, v16, v8
	s_waitcnt lgkmcnt(6)
	v_add_f32_e32 v81, v49, v47
	ds_bpermute_b32 v47, v16, v6
	v_add_f32_e32 v73, v45, v46
	ds_bpermute_b32 v45, v16, v10
	ds_bpermute_b32 v46, v16, v29
	v_cndmask_b32_e64 v9, -v9, v9, s11
	v_cndmask_b32_e64 v7, -v7, v7, s11
	s_waitcnt lgkmcnt(7)
	v_add_f32_e32 v90, v4, v11
	s_waitcnt lgkmcnt(6)
	v_add_f32_e32 v91, v5, v12
	ds_bpermute_b32 v11, v16, v15
	s_waitcnt lgkmcnt(6)
	v_add_f32_e32 v4, v9, v13
	s_waitcnt lgkmcnt(5)
	v_add_f32_e32 v5, v7, v14
	ds_bpermute_b32 v12, v16, v18
	ds_bpermute_b32 v13, v16, v58
	;; [unrolled: 1-line block ×3, first 2 shown]
	v_cndmask_b32_e64 v8, -v8, v8, s11
	v_cndmask_b32_e64 v7, -v10, v10, s11
	;; [unrolled: 1-line block ×4, first 2 shown]
	ds_bpermute_b32 v29, v1, v54
	s_waitcnt lgkmcnt(8)
	v_add_f32_e32 v6, v8, v22
	v_cndmask_b32_e64 v18, -v18, v18, s11
	v_cndmask_b32_e64 v22, -v58, v58, s11
	s_waitcnt lgkmcnt(6)
	v_add_f32_e32 v7, v7, v45
	s_waitcnt lgkmcnt(5)
	v_add_f32_e32 v8, v9, v46
	v_add_f32_e32 v9, v10, v47
	v_cndmask_b32_e64 v10, -v15, v15, s11
	ds_bpermute_b32 v15, v16, v19
	ds_bpermute_b32 v45, v16, v20
	;; [unrolled: 1-line block ×3, first 2 shown]
	v_cndmask_b32_e64 v30, -v30, v30, s11
	ds_bpermute_b32 v47, v16, v17
	v_add_f32_e32 v89, v50, v48
	s_waitcnt lgkmcnt(8)
	v_add_f32_e32 v10, v10, v11
	s_waitcnt lgkmcnt(7)
	;; [unrolled: 2-line block ×4, first 2 shown]
	v_add_f32_e32 v13, v30, v14
	ds_bpermute_b32 v22, v16, v23
	ds_bpermute_b32 v30, v16, v24
	;; [unrolled: 1-line block ×3, first 2 shown]
	v_cndmask_b32_e64 v18, -v54, v54, s10
	v_cndmask_b32_e64 v14, -v19, v19, s11
	ds_bpermute_b32 v49, v16, v26
	v_cndmask_b32_e64 v19, -v21, v21, s11
	v_cndmask_b32_e64 v21, -v23, v23, s11
	s_waitcnt lgkmcnt(8)
	v_add_f32_e32 v29, v18, v29
	v_cndmask_b32_e64 v18, -v20, v20, s11
	v_cndmask_b32_e64 v20, -v17, v17, s11
	s_waitcnt lgkmcnt(7)
	v_add_f32_e32 v14, v14, v15
	s_waitcnt lgkmcnt(5)
	v_add_f32_e32 v17, v19, v46
	ds_bpermute_b32 v23, v16, v27
	v_add_f32_e32 v15, v18, v45
	s_waitcnt lgkmcnt(5)
	v_add_f32_e32 v18, v20, v47
	ds_bpermute_b32 v45, v16, v28
	ds_bpermute_b32 v46, v16, v31
	;; [unrolled: 1-line block ×3, first 2 shown]
	v_cndmask_b32_e64 v20, -v24, v24, s11
	v_cndmask_b32_e64 v24, -v25, v25, s11
	ds_bpermute_b32 v50, v1, v55
	s_waitcnt lgkmcnt(8)
	v_add_f32_e32 v19, v21, v22
	v_cndmask_b32_e64 v25, -v26, v26, s11
	s_waitcnt lgkmcnt(7)
	v_add_f32_e32 v20, v20, v30
	s_waitcnt lgkmcnt(6)
	v_add_f32_e32 v21, v24, v48
	v_cndmask_b32_e64 v24, -v27, v27, s11
	ds_bpermute_b32 v27, v16, v35
	ds_bpermute_b32 v30, v16, v37
	s_waitcnt lgkmcnt(7)
	v_add_f32_e32 v22, v25, v49
	v_cndmask_b32_e64 v25, -v28, v28, s11
	v_cndmask_b32_e64 v26, -v31, v31, s11
	ds_bpermute_b32 v28, v16, v36
	v_cndmask_b32_e64 v31, -v34, v34, s11
	s_waitcnt lgkmcnt(7)
	v_add_f32_e32 v23, v24, v23
	ds_bpermute_b32 v34, v16, v33
	s_waitcnt lgkmcnt(7)
	v_add_f32_e32 v24, v25, v45
	v_cndmask_b32_e64 v45, -v55, v55, s10
	s_waitcnt lgkmcnt(6)
	v_add_f32_e32 v25, v26, v46
	s_waitcnt lgkmcnt(5)
	v_add_f32_e32 v26, v31, v47
	ds_bpermute_b32 v31, v16, v38
	v_cndmask_b32_e64 v35, -v35, v35, s11
	ds_bpermute_b32 v47, v16, v42
	v_cndmask_b32_e64 v37, -v37, v37, s11
	s_waitcnt lgkmcnt(6)
	v_add_f32_e32 v58, v45, v50
	ds_bpermute_b32 v45, v16, v39
	v_cndmask_b32_e64 v36, -v36, v36, s11
	s_waitcnt lgkmcnt(6)
	v_add_f32_e32 v27, v35, v27
	v_cndmask_b32_e64 v35, -v33, v33, s11
	s_waitcnt lgkmcnt(5)
	v_add_f32_e32 v33, v37, v30
	ds_bpermute_b32 v30, v16, v61
	ds_bpermute_b32 v48, v16, v62
	;; [unrolled: 1-line block ×4, first 2 shown]
	v_cndmask_b32_e64 v38, -v38, v38, s11
	s_waitcnt lgkmcnt(8)
	v_add_f32_e32 v28, v36, v28
	v_cndmask_b32_e64 v36, -v39, v39, s11
	v_cndmask_b32_e64 v39, -v42, v42, s11
	s_waitcnt lgkmcnt(7)
	v_add_f32_e32 v34, v35, v34
	ds_bpermute_b32 v49, v16, v63
	ds_bpermute_b32 v50, v16, v41
	s_waitcnt lgkmcnt(8)
	v_add_f32_e32 v35, v38, v31
	s_waitcnt lgkmcnt(7)
	v_add_f32_e32 v38, v39, v47
	ds_bpermute_b32 v31, v16, v43
	v_cndmask_b32_e64 v39, -v61, v61, s11
	v_cndmask_b32_e64 v37, -v40, v40, s11
	s_waitcnt lgkmcnt(7)
	v_add_f32_e32 v36, v36, v45
	v_cndmask_b32_e64 v40, -v62, v62, s11
	ds_bpermute_b32 v45, v16, v44
	ds_bpermute_b32 v47, v16, v57
	s_waitcnt lgkmcnt(8)
	v_add_f32_e32 v39, v39, v30
	ds_bpermute_b32 v30, v16, v80
	v_cndmask_b32_e64 v3, -v3, v3, s10
	s_waitcnt lgkmcnt(8)
	v_add_f32_e32 v40, v40, v48
	ds_bpermute_b32 v48, v16, v74
	s_waitcnt lgkmcnt(7)
	v_add_f32_e32 v37, v37, v46
	v_cndmask_b32_e64 v42, -v63, v63, s11
	v_add_f32_e32 v61, v3, v51
	ds_bpermute_b32 v3, v16, v75
	v_cndmask_b32_e64 v46, -v41, v41, s11
	v_cndmask_b32_e64 v43, -v43, v43, s11
	s_waitcnt lgkmcnt(7)
	v_add_f32_e32 v41, v42, v49
	v_cndmask_b32_e64 v44, -v44, v44, s11
	ds_bpermute_b32 v49, v16, v76
	s_waitcnt lgkmcnt(7)
	v_add_f32_e32 v42, v46, v50
	ds_bpermute_b32 v50, v16, v59
	s_waitcnt lgkmcnt(7)
	v_add_f32_e32 v43, v43, v31
	v_cndmask_b32_e64 v31, -v57, v57, s11
	v_cndmask_b32_e64 v46, -v80, v80, s11
	ds_bpermute_b32 v52, v16, v77
	v_cndmask_b32_e64 v51, -v74, v74, s11
	s_waitcnt lgkmcnt(7)
	v_add_f32_e32 v44, v44, v45
	s_waitcnt lgkmcnt(6)
	v_add_f32_e32 v45, v31, v47
	ds_bpermute_b32 v31, v16, v78
	s_waitcnt lgkmcnt(6)
	v_add_f32_e32 v46, v46, v30
	v_cndmask_b32_e64 v30, -v75, v75, s11
	ds_bpermute_b32 v53, v16, v79
	s_waitcnt lgkmcnt(6)
	v_add_f32_e32 v47, v51, v48
	ds_bpermute_b32 v54, v16, v84
	v_cndmask_b32_e64 v51, -v76, v76, s11
	s_waitcnt lgkmcnt(6)
	v_add_f32_e32 v48, v30, v3
	ds_bpermute_b32 v3, v16, v85
	v_cndmask_b32_e64 v55, -v59, v59, s11
	ds_bpermute_b32 v57, v1, v2
	v_cndmask_b32_e64 v30, -v77, v77, s11
	ds_bpermute_b32 v1, v1, v0
	s_waitcnt lgkmcnt(8)
	v_add_f32_e32 v49, v51, v49
	s_waitcnt lgkmcnt(7)
	v_add_f32_e32 v50, v55, v50
	v_cndmask_b32_e64 v55, -v78, v78, s11
	s_waitcnt lgkmcnt(6)
	v_add_f32_e32 v51, v30, v52
	ds_bpermute_b32 v30, v16, v82
	v_cndmask_b32_e64 v59, -v79, v79, s11
	v_cndmask_b32_e64 v62, -v84, v84, s11
	s_waitcnt lgkmcnt(6)
	v_add_f32_e32 v52, v55, v31
	ds_bpermute_b32 v31, v16, v83
	v_cndmask_b32_e64 v55, -v85, v85, s11
	s_waitcnt lgkmcnt(6)
	v_add_f32_e32 v53, v59, v53
	v_cndmask_b32_e64 v2, -v2, v2, s10
	ds_bpermute_b32 v59, v16, v56
	v_cndmask_b32_e64 v0, -v0, v0, s10
	s_waitcnt lgkmcnt(6)
	v_add_f32_e32 v54, v62, v54
	s_waitcnt lgkmcnt(5)
	v_add_f32_e32 v55, v55, v3
	ds_bpermute_b32 v3, v16, v87
	ds_bpermute_b32 v62, v16, v86
	s_waitcnt lgkmcnt(6)
	v_add_f32_e32 v57, v2, v57
	v_cndmask_b32_e64 v2, -v82, v82, s11
	ds_bpermute_b32 v63, v16, v88
	v_cndmask_b32_e64 v76, -v86, v86, s11
	s_waitcnt lgkmcnt(6)
	v_add_f32_e32 v86, v0, v1
	ds_bpermute_b32 v1, v16, v81
	v_cndmask_b32_e64 v74, -v83, v83, s11
	v_cndmask_b32_e64 v75, -v56, v56, s11
	s_waitcnt lgkmcnt(6)
	v_add_f32_e32 v56, v2, v30
	ds_bpermute_b32 v2, v16, v89
	ds_bpermute_b32 v30, v16, v90
	s_waitcnt lgkmcnt(7)
	v_add_f32_e32 v74, v74, v31
	v_cndmask_b32_e64 v31, -v87, v87, s11
	s_waitcnt lgkmcnt(0)
	buffer_gl0_inv
	v_add_f32_e32 v75, v75, v59
	v_cndmask_b32_e64 v59, -v88, v88, s11
	ds_write_b128 v32, v[4:7]
	ds_write_b128 v32, v[8:11] offset:4096
	ds_write_b128 v32, v[12:15] offset:8192
	;; [unrolled: 1-line block ×7, first 2 shown]
	ds_bpermute_b32 v35, v16, v57
	v_add_f32_e32 v77, v31, v3
	v_cndmask_b32_e64 v31, -v81, v81, s11
	v_add_f32_e32 v76, v76, v62
	v_cndmask_b32_e64 v62, -v90, v90, s11
	;; [unrolled: 2-line block ×3, first 2 shown]
	ds_bpermute_b32 v36, v16, v86
	v_add_f32_e32 v81, v31, v1
	ds_bpermute_b32 v31, v16, v58
	ds_bpermute_b32 v79, v16, v72
	;; [unrolled: 1-line block ×3, first 2 shown]
	v_add_f32_e32 v82, v59, v2
	ds_bpermute_b32 v59, v16, v61
	ds_bpermute_b32 v84, v16, v91
	v_add_f32_e32 v83, v62, v30
	ds_bpermute_b32 v30, v16, v29
	v_cndmask_b32_e64 v17, -v58, v58, s11
	v_cndmask_b32_e64 v37, -v57, v57, s11
	;; [unrolled: 1-line block ×7, first 2 shown]
	s_waitcnt lgkmcnt(7)
	v_add_f32_e32 v35, v37, v35
	s_waitcnt lgkmcnt(0)
	s_barrier
	v_add_f32_e32 v36, v38, v36
	buffer_gl0_inv
	v_add_f32_e32 v33, v17, v31
	v_cndmask_b32_e64 v17, -v61, v61, s11
	v_add_f32_e32 v79, v72, v79
	v_add_f32_e32 v80, v3, v0
	ds_read_b128 v[0:3], v60
	ds_read_b128 v[4:7], v60 offset:8192
	v_add_f32_e32 v84, v63, v84
	v_add_f32_e32 v34, v17, v59
	ds_read_b128 v[8:11], v60 offset:16384
	ds_read_b128 v[12:15], v60 offset:24576
	v_add_f32_e32 v85, v29, v30
	ds_read_b128 v[16:19], v60 offset:4096
	ds_read_b128 v[20:23], v60 offset:12288
	;; [unrolled: 1-line block ×4, first 2 shown]
	s_waitcnt lgkmcnt(0)
	s_barrier
	buffer_gl0_inv
	ds_write_b128 v32, v[41:44]
	ds_write_b128 v32, v[45:48] offset:4096
	ds_write_b128 v32, v[49:52] offset:8192
	;; [unrolled: 1-line block ×7, first 2 shown]
	s_waitcnt lgkmcnt(0)
	s_barrier
	buffer_gl0_inv
	ds_read_b128 v[40:43], v60
	ds_read_b128 v[32:35], v60 offset:4096
	ds_read_b128 v[44:47], v60 offset:8192
	;; [unrolled: 1-line block ×7, first 2 shown]
	s_load_dword s14, s[4:5], 0x20
	s_mul_i32 s4, s22, s15
	s_mul_hi_u32 s5, s22, s6
	v_add_f32_e32 v88, v0, v4
	v_add_f32_e32 v89, v1, v5
	;; [unrolled: 1-line block ×16, first 2 shown]
	s_waitcnt lgkmcnt(0)
	v_add_f32_e32 v104, v40, v44
	v_add_f32_e32 v105, v41, v45
	;; [unrolled: 1-line block ×16, first 2 shown]
	s_add_i32 s4, s5, s4
	s_mul_i32 s5, s23, s6
	v_add_f32_e32 v72, v88, v90
	s_add_i32 s5, s4, s5
	s_mul_i32 s4, s22, s6
	v_add_f32_e32 v73, v89, v91
	s_lshl_b64 s[4:5], s[4:5], 1
	v_add_f32_e32 v74, v92, v94
	v_add_f32_e32 v78, v93, v95
	;; [unrolled: 1-line block ×14, first 2 shown]
	s_add_u32 s12, s18, s4
	s_addc_u32 s13, s19, s5
	s_and_saveexec_b32 s11, s8
	s_cbranch_execz .LBB37_18
; %bb.17:
	v_add_f32_e32 v120, v80, v75
	v_add_f32_e32 v121, v82, v77
	;; [unrolled: 1-line block ×5, first 2 shown]
	v_mul_f32_e32 v120, s14, v120
	v_mul_f32_e32 v121, s14, v121
	;; [unrolled: 1-line block ×4, first 2 shown]
	v_add_f32_e32 v125, v85, v74
	v_bfe_u32 v128, v120, 16, 1
	v_bfe_u32 v129, v121, 16, 1
	v_or_b32_e32 v130, 0x400000, v120
	v_cmp_u_f32_e64 s4, v120, v120
	v_add_f32_e32 v126, v84, v73
	v_add3_u32 v120, v128, v120, 0x7fff
	v_add_f32_e32 v127, v83, v72
	v_or_b32_e32 v128, 0x400000, v121
	v_bfe_u32 v131, v122, 16, 1
	v_add3_u32 v129, v129, v121, 0x7fff
	v_cndmask_b32_e64 v120, v120, v130, s4
	v_bfe_u32 v130, v123, 16, 1
	v_cmp_u_f32_e64 s4, v121, v121
	v_mul_f32_e32 v124, s14, v124
	v_add3_u32 v121, v131, v122, 0x7fff
	v_or_b32_e32 v131, 0x400000, v122
	v_cmp_u_f32_e64 s5, v122, v122
	v_cndmask_b32_e64 v122, v129, v128, s4
	v_add3_u32 v128, v130, v123, 0x7fff
	v_or_b32_e32 v129, 0x400000, v123
	v_bfe_u32 v130, v124, 16, 1
	v_mul_f32_e32 v125, s14, v125
	v_cmp_u_f32_e64 s4, v123, v123
	v_mul_f32_e32 v123, s14, v126
	v_mul_f32_e32 v127, s14, v127
	v_cndmask_b32_e64 v121, v121, v131, s5
	v_add3_u32 v126, v130, v124, 0x7fff
	v_bfe_u32 v130, v125, 16, 1
	v_or_b32_e32 v131, 0x400000, v124
	v_bfe_u32 v132, v123, 16, 1
	v_cmp_u_f32_e64 s5, v124, v124
	v_bfe_u32 v124, v127, 16, 1
	v_add3_u32 v130, v130, v125, 0x7fff
	v_or_b32_e32 v133, 0x400000, v125
	v_add3_u32 v132, v132, v123, 0x7fff
	v_or_b32_e32 v134, 0x400000, v123
	;; [unrolled: 2-line block ×3, first 2 shown]
	v_cmp_u_f32_e64 s6, v125, v125
	v_cmp_u_f32_e64 s8, v123, v123
	v_cmp_u_f32_e64 s10, v127, v127
	v_cndmask_b32_e64 v125, v128, v129, s4
	v_cndmask_b32_e64 v126, v126, v131, s5
	;; [unrolled: 1-line block ×5, first 2 shown]
	v_perm_b32 v123, v120, v122, 0x7060302
	v_perm_b32 v122, v121, v125, 0x7060302
	;; [unrolled: 1-line block ×4, first 2 shown]
	global_store_dwordx4 v71, v[120:123], s[12:13]
.LBB37_18:
	s_or_b32 exec_lo, exec_lo, s11
	v_sub_f32_e32 v71, v1, v5
	v_sub_f32_e32 v120, v0, v4
	;; [unrolled: 1-line block ×32, first 2 shown]
	v_add_f32_e32 v0, v120, v121
	v_add_f32_e32 v1, v71, v122
	;; [unrolled: 1-line block ×16, first 2 shown]
	s_and_saveexec_b32 s5, s7
	s_cbranch_execz .LBB37_20
; %bb.19:
	v_add_f32_e32 v11, v12, v0
	v_add_f32_e32 v18, v14, v2
	;; [unrolled: 1-line block ×5, first 2 shown]
	v_mul_f32_e32 v11, s14, v11
	v_mul_f32_e32 v18, s14, v18
	v_mul_f32_e32 v19, s14, v19
	v_add_f32_e32 v22, v10, v5
	v_mul_f32_e32 v20, s14, v20
	v_bfe_u32 v24, v11, 16, 1
	v_or_b32_e32 v26, 0x400000, v11
	v_bfe_u32 v27, v18, 16, 1
	v_cmp_u_f32_e64 s4, v11, v11
	v_bfe_u32 v28, v19, 16, 1
	v_add3_u32 v24, v24, v11, 0x7fff
	v_add_f32_e32 v23, v8, v3
	v_or_b32_e32 v29, 0x400000, v19
	v_add_f32_e32 v17, v13, v1
	v_add3_u32 v28, v28, v19, 0x7fff
	v_cndmask_b32_e64 v11, v24, v26, s4
	v_add3_u32 v26, v27, v18, 0x7fff
	v_or_b32_e32 v27, 0x400000, v18
	v_cmp_u_f32_e64 s4, v18, v18
	v_mul_f32_e32 v17, s14, v17
	v_cndmask_b32_e64 v18, v26, v27, s4
	v_bfe_u32 v26, v20, 16, 1
	v_cmp_u_f32_e64 s4, v19, v19
	v_mul_f32_e32 v19, s14, v21
	v_mul_f32_e32 v21, s14, v22
	;; [unrolled: 1-line block ×3, first 2 shown]
	v_add3_u32 v23, v26, v20, 0x7fff
	v_cndmask_b32_e64 v27, v28, v29, s4
	v_or_b32_e32 v26, 0x400000, v20
	v_bfe_u32 v28, v19, 16, 1
	v_bfe_u32 v29, v21, 16, 1
	v_cmp_u_f32_e64 s4, v20, v20
	v_bfe_u32 v30, v22, 16, 1
	v_bfe_u32 v25, v17, 16, 1
	v_add3_u32 v20, v28, v19, 0x7fff
	v_or_b32_e32 v28, 0x400000, v21
	v_cndmask_b32_e64 v23, v23, v26, s4
	v_add3_u32 v26, v29, v21, 0x7fff
	v_cmp_u_f32_e64 s4, v21, v21
	v_add3_u32 v29, v30, v22, 0x7fff
	v_or_b32_e32 v30, 0x400000, v22
	v_or_b32_e32 v31, 0x400000, v19
	v_add3_u32 v25, v25, v17, 0x7fff
	v_cndmask_b32_e64 v21, v26, v28, s4
	v_cmp_u_f32_e64 s4, v22, v22
	v_or_b32_e32 v24, 0x400000, v17
	v_perm_b32 v18, v27, v18, 0x7060302
	v_cndmask_b32_e64 v22, v29, v30, s4
	v_cmp_u_f32_e64 s4, v19, v19
	v_cndmask_b32_e64 v19, v20, v31, s4
	v_cmp_u_f32_e64 s4, v17, v17
	v_perm_b32 v20, v22, v21, 0x7060302
	v_perm_b32 v19, v19, v23, 0x7060302
	v_cndmask_b32_e64 v17, v25, v24, s4
	v_perm_b32 v17, v17, v11, 0x7060302
	global_store_dwordx4 v70, v[17:20], s[12:13]
.LBB37_20:
	s_or_b32 exec_lo, exec_lo, s5
	v_sub_f32_e32 v20, v88, v90
	v_sub_f32_e32 v21, v89, v91
	;; [unrolled: 1-line block ×16, first 2 shown]
	s_and_saveexec_b32 s5, s9
	s_cbranch_execz .LBB37_22
; %bb.21:
	v_add_f32_e32 v32, v20, v27
	v_add_f32_e32 v34, v22, v29
	;; [unrolled: 1-line block ×5, first 2 shown]
	v_mul_f32_e32 v32, s14, v32
	v_mul_f32_e32 v34, s14, v34
	;; [unrolled: 1-line block ×3, first 2 shown]
	v_add_f32_e32 v38, v18, v26
	v_mul_f32_e32 v36, s14, v36
	v_bfe_u32 v53, v32, 16, 1
	v_or_b32_e32 v55, 0x400000, v32
	v_bfe_u32 v56, v34, 16, 1
	v_cmp_u_f32_e64 s4, v32, v32
	v_bfe_u32 v57, v35, 16, 1
	v_add3_u32 v53, v53, v32, 0x7fff
	v_add_f32_e32 v39, v11, v19
	v_or_b32_e32 v58, 0x400000, v35
	v_add_f32_e32 v33, v21, v28
	v_add3_u32 v57, v57, v35, 0x7fff
	v_cndmask_b32_e64 v32, v53, v55, s4
	v_add3_u32 v55, v56, v34, 0x7fff
	v_or_b32_e32 v56, 0x400000, v34
	v_cmp_u_f32_e64 s4, v34, v34
	v_bfe_u32 v34, v36, 16, 1
	v_mul_f32_e32 v33, s14, v33
	v_cndmask_b32_e64 v55, v55, v56, s4
	v_cmp_u_f32_e64 s4, v35, v35
	v_mul_f32_e32 v35, s14, v37
	v_mul_f32_e32 v37, s14, v38
	;; [unrolled: 1-line block ×3, first 2 shown]
	v_add3_u32 v34, v34, v36, 0x7fff
	v_cndmask_b32_e64 v56, v57, v58, s4
	v_or_b32_e32 v39, 0x400000, v36
	v_bfe_u32 v57, v35, 16, 1
	v_bfe_u32 v58, v37, 16, 1
	v_cmp_u_f32_e64 s4, v36, v36
	v_bfe_u32 v59, v38, 16, 1
	v_bfe_u32 v54, v33, 16, 1
	v_add3_u32 v36, v57, v35, 0x7fff
	v_or_b32_e32 v57, 0x400000, v37
	v_cndmask_b32_e64 v34, v34, v39, s4
	v_add3_u32 v39, v58, v37, 0x7fff
	v_cmp_u_f32_e64 s4, v37, v37
	v_add3_u32 v58, v59, v38, 0x7fff
	v_or_b32_e32 v59, 0x400000, v38
	v_or_b32_e32 v60, 0x400000, v35
	v_add3_u32 v54, v54, v33, 0x7fff
	v_cndmask_b32_e64 v37, v39, v57, s4
	v_cmp_u_f32_e64 s4, v38, v38
	v_or_b32_e32 v53, 0x400000, v33
	v_cndmask_b32_e64 v38, v58, v59, s4
	v_cmp_u_f32_e64 s4, v35, v35
	v_perm_b32 v35, v38, v37, 0x7060302
	v_cndmask_b32_e64 v36, v36, v60, s4
	v_cmp_u_f32_e64 s4, v33, v33
	v_perm_b32 v33, v56, v55, 0x7060302
	v_perm_b32 v34, v36, v34, 0x7060302
	v_cndmask_b32_e64 v39, v54, v53, s4
	v_perm_b32 v32, v39, v32, 0x7060302
	global_store_dwordx4 v69, v[32:35], s[12:13]
.LBB37_22:
	s_or_b32 exec_lo, exec_lo, s5
	v_sub_f32_e32 v35, v71, v122
	v_sub_f32_e32 v37, v120, v121
	;; [unrolled: 1-line block ×16, first 2 shown]
	s_and_saveexec_b32 s4, s3
	s_cbranch_execnz .LBB37_28
; %bb.23:
	s_or_b32 exec_lo, exec_lo, s4
	s_and_saveexec_b32 s3, s2
	s_cbranch_execnz .LBB37_29
.LBB37_24:
	s_or_b32 exec_lo, exec_lo, s3
	s_and_saveexec_b32 s2, s1
	s_cbranch_execnz .LBB37_30
.LBB37_25:
	s_or_b32 exec_lo, exec_lo, s2
	s_and_saveexec_b32 s1, s0
	s_cbranch_execnz .LBB37_31
.LBB37_26:
	s_or_b32 exec_lo, exec_lo, s1
	s_and_saveexec_b32 s0, vcc_lo
	s_cbranch_execnz .LBB37_32
.LBB37_27:
	s_endpgm
.LBB37_28:
	v_add_f32_e32 v48, v37, v45
	v_add_f32_e32 v50, v38, v46
	;; [unrolled: 1-line block ×5, first 2 shown]
	v_mul_f32_e32 v48, s14, v48
	v_mul_f32_e32 v50, s14, v50
	;; [unrolled: 1-line block ×3, first 2 shown]
	v_add_f32_e32 v54, v34, v42
	v_mul_f32_e32 v52, s14, v52
	v_bfe_u32 v56, v48, 16, 1
	v_or_b32_e32 v58, 0x400000, v48
	v_bfe_u32 v59, v50, 16, 1
	v_cmp_u_f32_e64 s3, v48, v48
	v_bfe_u32 v60, v51, 16, 1
	v_add3_u32 v56, v56, v48, 0x7fff
	v_add_f32_e32 v55, v32, v40
	v_or_b32_e32 v61, 0x400000, v51
	v_add_f32_e32 v49, v35, v43
	v_add3_u32 v60, v60, v51, 0x7fff
	v_cndmask_b32_e64 v48, v56, v58, s3
	v_add3_u32 v58, v59, v50, 0x7fff
	v_or_b32_e32 v59, 0x400000, v50
	v_cmp_u_f32_e64 s3, v50, v50
	v_bfe_u32 v50, v52, 16, 1
	v_mul_f32_e32 v49, s14, v49
	v_cndmask_b32_e64 v58, v58, v59, s3
	v_cmp_u_f32_e64 s3, v51, v51
	v_mul_f32_e32 v51, s14, v53
	v_mul_f32_e32 v53, s14, v54
	;; [unrolled: 1-line block ×3, first 2 shown]
	v_add3_u32 v50, v50, v52, 0x7fff
	v_cndmask_b32_e64 v59, v60, v61, s3
	v_or_b32_e32 v55, 0x400000, v52
	v_bfe_u32 v60, v51, 16, 1
	v_bfe_u32 v61, v53, 16, 1
	v_cmp_u_f32_e64 s3, v52, v52
	v_bfe_u32 v62, v54, 16, 1
	v_bfe_u32 v57, v49, 16, 1
	v_add3_u32 v52, v60, v51, 0x7fff
	v_or_b32_e32 v60, 0x400000, v53
	v_cndmask_b32_e64 v50, v50, v55, s3
	v_add3_u32 v55, v61, v53, 0x7fff
	v_cmp_u_f32_e64 s3, v53, v53
	v_add3_u32 v61, v62, v54, 0x7fff
	v_or_b32_e32 v62, 0x400000, v54
	v_or_b32_e32 v63, 0x400000, v51
	v_add3_u32 v57, v57, v49, 0x7fff
	v_cndmask_b32_e64 v53, v55, v60, s3
	v_cmp_u_f32_e64 s3, v54, v54
	v_or_b32_e32 v56, 0x400000, v49
	v_cndmask_b32_e64 v54, v61, v62, s3
	v_cmp_u_f32_e64 s3, v51, v51
	v_perm_b32 v51, v54, v53, 0x7060302
	v_cndmask_b32_e64 v52, v52, v63, s3
	v_cmp_u_f32_e64 s3, v49, v49
	v_perm_b32 v49, v59, v58, 0x7060302
	v_perm_b32 v50, v52, v50, 0x7060302
	v_cndmask_b32_e64 v55, v57, v56, s3
	v_perm_b32 v48, v55, v48, 0x7060302
	global_store_dwordx4 v68, v[48:51], s[12:13]
	s_or_b32 exec_lo, exec_lo, s4
	s_and_saveexec_b32 s3, s2
	s_cbranch_execz .LBB37_24
.LBB37_29:
	v_sub_f32_e32 v48, v72, v83
	v_sub_f32_e32 v50, v74, v85
	;; [unrolled: 1-line block ×5, first 2 shown]
	v_mul_f32_e32 v48, s14, v48
	v_mul_f32_e32 v50, s14, v50
	;; [unrolled: 1-line block ×3, first 2 shown]
	v_sub_f32_e32 v54, v77, v82
	v_mul_f32_e32 v52, s14, v52
	v_bfe_u32 v56, v48, 16, 1
	v_or_b32_e32 v58, 0x400000, v48
	v_bfe_u32 v59, v50, 16, 1
	v_cmp_u_f32_e64 s2, v48, v48
	v_bfe_u32 v60, v51, 16, 1
	v_add3_u32 v56, v56, v48, 0x7fff
	v_sub_f32_e32 v55, v75, v80
	v_or_b32_e32 v61, 0x400000, v51
	v_sub_f32_e32 v49, v73, v84
	v_add3_u32 v60, v60, v51, 0x7fff
	v_cndmask_b32_e64 v48, v56, v58, s2
	v_add3_u32 v58, v59, v50, 0x7fff
	v_or_b32_e32 v59, 0x400000, v50
	v_cmp_u_f32_e64 s2, v50, v50
	v_bfe_u32 v50, v52, 16, 1
	v_mul_f32_e32 v49, s14, v49
	v_cndmask_b32_e64 v58, v58, v59, s2
	v_cmp_u_f32_e64 s2, v51, v51
	v_mul_f32_e32 v51, s14, v53
	v_mul_f32_e32 v53, s14, v54
	;; [unrolled: 1-line block ×3, first 2 shown]
	v_add3_u32 v50, v50, v52, 0x7fff
	v_cndmask_b32_e64 v59, v60, v61, s2
	v_or_b32_e32 v55, 0x400000, v52
	v_bfe_u32 v60, v51, 16, 1
	v_bfe_u32 v61, v53, 16, 1
	v_cmp_u_f32_e64 s2, v52, v52
	v_bfe_u32 v62, v54, 16, 1
	v_bfe_u32 v57, v49, 16, 1
	v_add3_u32 v52, v60, v51, 0x7fff
	v_or_b32_e32 v60, 0x400000, v53
	v_cndmask_b32_e64 v50, v50, v55, s2
	v_add3_u32 v55, v61, v53, 0x7fff
	v_cmp_u_f32_e64 s2, v53, v53
	v_add3_u32 v61, v62, v54, 0x7fff
	v_or_b32_e32 v62, 0x400000, v54
	v_or_b32_e32 v63, 0x400000, v51
	v_add3_u32 v57, v57, v49, 0x7fff
	v_cndmask_b32_e64 v53, v55, v60, s2
	v_cmp_u_f32_e64 s2, v54, v54
	v_or_b32_e32 v56, 0x400000, v49
	v_cndmask_b32_e64 v54, v61, v62, s2
	v_cmp_u_f32_e64 s2, v51, v51
	v_perm_b32 v51, v54, v53, 0x7060302
	v_cndmask_b32_e64 v52, v52, v63, s2
	v_cmp_u_f32_e64 s2, v49, v49
	v_perm_b32 v49, v59, v58, 0x7060302
	v_perm_b32 v50, v52, v50, 0x7060302
	v_cndmask_b32_e64 v55, v57, v56, s2
	v_perm_b32 v48, v55, v48, 0x7060302
	global_store_dwordx4 v67, v[48:51], s[12:13]
	s_or_b32 exec_lo, exec_lo, s3
	s_and_saveexec_b32 s2, s1
	s_cbranch_execz .LBB37_25
.LBB37_30:
	v_sub_f32_e32 v0, v0, v12
	v_sub_f32_e32 v2, v2, v14
	v_sub_f32_e32 v6, v6, v15
	v_sub_f32_e32 v3, v3, v8
	v_sub_f32_e32 v7, v7, v16
	v_mul_f32_e32 v0, s14, v0
	v_mul_f32_e32 v2, s14, v2
	v_sub_f32_e32 v5, v5, v10
	v_mul_f32_e32 v6, s14, v6
	v_sub_f32_e32 v1, v1, v13
	v_bfe_u32 v8, v0, 16, 1
	v_or_b32_e32 v10, 0x400000, v0
	v_bfe_u32 v12, v2, 16, 1
	v_cmp_u_f32_e64 s1, v0, v0
	v_sub_f32_e32 v4, v4, v9
	v_add3_u32 v8, v8, v0, 0x7fff
	v_bfe_u32 v13, v6, 16, 1
	v_mul_f32_e32 v7, s14, v7
	v_or_b32_e32 v14, 0x400000, v6
	v_mul_f32_e32 v4, s14, v4
	v_cndmask_b32_e64 v0, v8, v10, s1
	v_add3_u32 v10, v12, v2, 0x7fff
	v_or_b32_e32 v12, 0x400000, v2
	v_cmp_u_f32_e64 s1, v2, v2
	v_add3_u32 v13, v13, v6, 0x7fff
	v_bfe_u32 v2, v7, 16, 1
	v_mul_f32_e32 v5, s14, v5
	v_mul_f32_e32 v3, s14, v3
	v_cndmask_b32_e64 v10, v10, v12, s1
	v_cmp_u_f32_e64 s1, v6, v6
	v_add3_u32 v2, v2, v7, 0x7fff
	v_or_b32_e32 v12, 0x400000, v7
	v_bfe_u32 v15, v3, 16, 1
	v_mul_f32_e32 v1, s14, v1
	v_cndmask_b32_e64 v6, v13, v14, s1
	v_bfe_u32 v13, v4, 16, 1
	v_bfe_u32 v14, v5, 16, 1
	v_cmp_u_f32_e64 s1, v7, v7
	v_bfe_u32 v9, v1, 16, 1
	v_or_b32_e32 v16, 0x400000, v4
	v_add3_u32 v7, v13, v4, 0x7fff
	v_or_b32_e32 v13, 0x400000, v5
	v_cndmask_b32_e64 v2, v2, v12, s1
	v_add3_u32 v12, v14, v5, 0x7fff
	v_cmp_u_f32_e64 s1, v5, v5
	v_add3_u32 v14, v15, v3, 0x7fff
	v_or_b32_e32 v15, 0x400000, v3
	v_add3_u32 v9, v9, v1, 0x7fff
	v_or_b32_e32 v8, 0x400000, v1
	v_cndmask_b32_e64 v5, v12, v13, s1
	v_cmp_u_f32_e64 s1, v3, v3
	v_cndmask_b32_e64 v3, v14, v15, s1
	v_cmp_u_f32_e64 s1, v4, v4
	v_perm_b32 v3, v3, v5, 0x7060302
	v_cndmask_b32_e64 v4, v7, v16, s1
	v_cmp_u_f32_e64 s1, v1, v1
	v_perm_b32 v1, v6, v10, 0x7060302
	v_perm_b32 v2, v4, v2, 0x7060302
	v_cndmask_b32_e64 v7, v9, v8, s1
	v_perm_b32 v0, v7, v0, 0x7060302
	global_store_dwordx4 v66, v[0:3], s[12:13]
	s_or_b32 exec_lo, exec_lo, s2
	s_and_saveexec_b32 s1, s0
	s_cbranch_execz .LBB37_26
.LBB37_31:
	v_sub_f32_e32 v0, v20, v27
	v_sub_f32_e32 v2, v22, v29
	;; [unrolled: 1-line block ×5, first 2 shown]
	v_mul_f32_e32 v0, s14, v0
	v_mul_f32_e32 v2, s14, v2
	;; [unrolled: 1-line block ×3, first 2 shown]
	v_sub_f32_e32 v5, v17, v25
	v_sub_f32_e32 v6, v18, v26
	v_bfe_u32 v8, v0, 16, 1
	v_or_b32_e32 v10, 0x400000, v0
	v_bfe_u32 v11, v2, 16, 1
	v_cmp_u_f32_e64 s0, v0, v0
	v_bfe_u32 v12, v3, 16, 1
	v_add3_u32 v8, v8, v0, 0x7fff
	v_mul_f32_e32 v4, s14, v4
	v_or_b32_e32 v13, 0x400000, v3
	v_sub_f32_e32 v1, v21, v28
	v_add3_u32 v12, v12, v3, 0x7fff
	v_cndmask_b32_e64 v0, v8, v10, s0
	v_add3_u32 v10, v11, v2, 0x7fff
	v_or_b32_e32 v11, 0x400000, v2
	v_cmp_u_f32_e64 s0, v2, v2
	v_bfe_u32 v2, v4, 16, 1
	v_mul_f32_e32 v1, s14, v1
	v_cndmask_b32_e64 v10, v10, v11, s0
	v_cmp_u_f32_e64 s0, v3, v3
	v_mul_f32_e32 v3, s14, v5
	v_mul_f32_e32 v5, s14, v6
	;; [unrolled: 1-line block ×3, first 2 shown]
	v_add3_u32 v2, v2, v4, 0x7fff
	v_cndmask_b32_e64 v11, v12, v13, s0
	v_or_b32_e32 v7, 0x400000, v4
	v_bfe_u32 v12, v3, 16, 1
	v_bfe_u32 v13, v5, 16, 1
	v_cmp_u_f32_e64 s0, v4, v4
	v_bfe_u32 v14, v6, 16, 1
	v_bfe_u32 v9, v1, 16, 1
	v_add3_u32 v4, v12, v3, 0x7fff
	v_or_b32_e32 v12, 0x400000, v5
	v_cndmask_b32_e64 v2, v2, v7, s0
	v_add3_u32 v7, v13, v5, 0x7fff
	v_cmp_u_f32_e64 s0, v5, v5
	v_add3_u32 v13, v14, v6, 0x7fff
	v_or_b32_e32 v14, 0x400000, v6
	v_or_b32_e32 v15, 0x400000, v3
	v_add3_u32 v9, v9, v1, 0x7fff
	v_cndmask_b32_e64 v5, v7, v12, s0
	v_cmp_u_f32_e64 s0, v6, v6
	v_or_b32_e32 v8, 0x400000, v1
	v_cndmask_b32_e64 v6, v13, v14, s0
	v_cmp_u_f32_e64 s0, v3, v3
	v_perm_b32 v3, v6, v5, 0x7060302
	v_cndmask_b32_e64 v4, v4, v15, s0
	v_cmp_u_f32_e64 s0, v1, v1
	v_perm_b32 v1, v11, v10, 0x7060302
	v_perm_b32 v2, v4, v2, 0x7060302
	v_cndmask_b32_e64 v7, v9, v8, s0
	v_perm_b32 v0, v7, v0, 0x7060302
	global_store_dwordx4 v65, v[0:3], s[12:13]
	s_or_b32 exec_lo, exec_lo, s1
	s_and_saveexec_b32 s0, vcc_lo
	s_cbranch_execz .LBB37_27
.LBB37_32:
	v_sub_f32_e32 v0, v37, v45
	v_sub_f32_e32 v2, v38, v46
	;; [unrolled: 1-line block ×5, first 2 shown]
	v_mul_f32_e32 v0, s14, v0
	v_mul_f32_e32 v2, s14, v2
	;; [unrolled: 1-line block ×3, first 2 shown]
	v_sub_f32_e32 v6, v34, v42
	v_mul_f32_e32 v4, s14, v4
	v_bfe_u32 v8, v0, 16, 1
	v_or_b32_e32 v10, 0x400000, v0
	v_bfe_u32 v11, v2, 16, 1
	v_cmp_u_f32_e32 vcc_lo, v0, v0
	v_bfe_u32 v12, v3, 16, 1
	v_add3_u32 v8, v8, v0, 0x7fff
	v_sub_f32_e32 v7, v32, v40
	v_or_b32_e32 v13, 0x400000, v3
	v_sub_f32_e32 v1, v35, v43
	v_add3_u32 v12, v12, v3, 0x7fff
	v_cndmask_b32_e32 v0, v8, v10, vcc_lo
	v_add3_u32 v10, v11, v2, 0x7fff
	v_or_b32_e32 v11, 0x400000, v2
	v_cmp_u_f32_e32 vcc_lo, v2, v2
	v_bfe_u32 v2, v4, 16, 1
	v_mul_f32_e32 v1, s14, v1
	v_cndmask_b32_e32 v10, v10, v11, vcc_lo
	v_cmp_u_f32_e32 vcc_lo, v3, v3
	v_mul_f32_e32 v3, s14, v5
	v_mul_f32_e32 v5, s14, v6
	;; [unrolled: 1-line block ×3, first 2 shown]
	v_add3_u32 v2, v2, v4, 0x7fff
	v_cndmask_b32_e32 v11, v12, v13, vcc_lo
	v_or_b32_e32 v7, 0x400000, v4
	v_bfe_u32 v12, v3, 16, 1
	v_bfe_u32 v13, v5, 16, 1
	v_cmp_u_f32_e32 vcc_lo, v4, v4
	v_bfe_u32 v14, v6, 16, 1
	v_bfe_u32 v9, v1, 16, 1
	v_add3_u32 v4, v12, v3, 0x7fff
	v_or_b32_e32 v12, 0x400000, v5
	v_cndmask_b32_e32 v2, v2, v7, vcc_lo
	v_add3_u32 v7, v13, v5, 0x7fff
	v_cmp_u_f32_e32 vcc_lo, v5, v5
	v_add3_u32 v13, v14, v6, 0x7fff
	v_or_b32_e32 v14, 0x400000, v6
	v_or_b32_e32 v15, 0x400000, v3
	v_add3_u32 v9, v9, v1, 0x7fff
	v_cndmask_b32_e32 v5, v7, v12, vcc_lo
	v_cmp_u_f32_e32 vcc_lo, v6, v6
	v_or_b32_e32 v8, 0x400000, v1
	v_cndmask_b32_e32 v6, v13, v14, vcc_lo
	v_cmp_u_f32_e32 vcc_lo, v3, v3
	v_perm_b32 v3, v6, v5, 0x7060302
	v_cndmask_b32_e32 v4, v4, v15, vcc_lo
	v_cmp_u_f32_e32 vcc_lo, v1, v1
	v_perm_b32 v1, v11, v10, 0x7060302
	v_perm_b32 v2, v4, v2, 0x7060302
	v_cndmask_b32_e32 v7, v9, v8, vcc_lo
	v_perm_b32 v0, v7, v0, 0x7060302
	global_store_dwordx4 v64, v[0:3], s[12:13]
	s_endpgm
	.section	.rodata,"a",@progbits
	.p2align	6, 0x0
	.amdhsa_kernel _Z30fast_hadamard_transform_kernelI37fast_hadamard_transform_kernel_traitsILi256ELi14E14__hip_bfloat16EEv18HadamardParamsBase
		.amdhsa_group_segment_fixed_size 0
		.amdhsa_private_segment_fixed_size 0
		.amdhsa_kernarg_size 312
		.amdhsa_user_sgpr_count 6
		.amdhsa_user_sgpr_private_segment_buffer 1
		.amdhsa_user_sgpr_dispatch_ptr 0
		.amdhsa_user_sgpr_queue_ptr 0
		.amdhsa_user_sgpr_kernarg_segment_ptr 1
		.amdhsa_user_sgpr_dispatch_id 0
		.amdhsa_user_sgpr_flat_scratch_init 0
		.amdhsa_user_sgpr_private_segment_size 0
		.amdhsa_wavefront_size32 1
		.amdhsa_uses_dynamic_stack 0
		.amdhsa_system_sgpr_private_segment_wavefront_offset 0
		.amdhsa_system_sgpr_workgroup_id_x 1
		.amdhsa_system_sgpr_workgroup_id_y 0
		.amdhsa_system_sgpr_workgroup_id_z 0
		.amdhsa_system_sgpr_workgroup_info 0
		.amdhsa_system_vgpr_workitem_id 0
		.amdhsa_next_free_vgpr 138
		.amdhsa_next_free_sgpr 24
		.amdhsa_reserve_vcc 1
		.amdhsa_reserve_flat_scratch 0
		.amdhsa_float_round_mode_32 0
		.amdhsa_float_round_mode_16_64 0
		.amdhsa_float_denorm_mode_32 3
		.amdhsa_float_denorm_mode_16_64 3
		.amdhsa_dx10_clamp 1
		.amdhsa_ieee_mode 1
		.amdhsa_fp16_overflow 0
		.amdhsa_workgroup_processor_mode 1
		.amdhsa_memory_ordered 1
		.amdhsa_forward_progress 1
		.amdhsa_shared_vgpr_count 0
		.amdhsa_exception_fp_ieee_invalid_op 0
		.amdhsa_exception_fp_denorm_src 0
		.amdhsa_exception_fp_ieee_div_zero 0
		.amdhsa_exception_fp_ieee_overflow 0
		.amdhsa_exception_fp_ieee_underflow 0
		.amdhsa_exception_fp_ieee_inexact 0
		.amdhsa_exception_int_div_zero 0
	.end_amdhsa_kernel
	.section	.text._Z30fast_hadamard_transform_kernelI37fast_hadamard_transform_kernel_traitsILi256ELi14E14__hip_bfloat16EEv18HadamardParamsBase,"axG",@progbits,_Z30fast_hadamard_transform_kernelI37fast_hadamard_transform_kernel_traitsILi256ELi14E14__hip_bfloat16EEv18HadamardParamsBase,comdat
.Lfunc_end37:
	.size	_Z30fast_hadamard_transform_kernelI37fast_hadamard_transform_kernel_traitsILi256ELi14E14__hip_bfloat16EEv18HadamardParamsBase, .Lfunc_end37-_Z30fast_hadamard_transform_kernelI37fast_hadamard_transform_kernel_traitsILi256ELi14E14__hip_bfloat16EEv18HadamardParamsBase
                                        ; -- End function
	.set _Z30fast_hadamard_transform_kernelI37fast_hadamard_transform_kernel_traitsILi256ELi14E14__hip_bfloat16EEv18HadamardParamsBase.num_vgpr, 138
	.set _Z30fast_hadamard_transform_kernelI37fast_hadamard_transform_kernel_traitsILi256ELi14E14__hip_bfloat16EEv18HadamardParamsBase.num_agpr, 0
	.set _Z30fast_hadamard_transform_kernelI37fast_hadamard_transform_kernel_traitsILi256ELi14E14__hip_bfloat16EEv18HadamardParamsBase.numbered_sgpr, 24
	.set _Z30fast_hadamard_transform_kernelI37fast_hadamard_transform_kernel_traitsILi256ELi14E14__hip_bfloat16EEv18HadamardParamsBase.num_named_barrier, 0
	.set _Z30fast_hadamard_transform_kernelI37fast_hadamard_transform_kernel_traitsILi256ELi14E14__hip_bfloat16EEv18HadamardParamsBase.private_seg_size, 0
	.set _Z30fast_hadamard_transform_kernelI37fast_hadamard_transform_kernel_traitsILi256ELi14E14__hip_bfloat16EEv18HadamardParamsBase.uses_vcc, 1
	.set _Z30fast_hadamard_transform_kernelI37fast_hadamard_transform_kernel_traitsILi256ELi14E14__hip_bfloat16EEv18HadamardParamsBase.uses_flat_scratch, 0
	.set _Z30fast_hadamard_transform_kernelI37fast_hadamard_transform_kernel_traitsILi256ELi14E14__hip_bfloat16EEv18HadamardParamsBase.has_dyn_sized_stack, 0
	.set _Z30fast_hadamard_transform_kernelI37fast_hadamard_transform_kernel_traitsILi256ELi14E14__hip_bfloat16EEv18HadamardParamsBase.has_recursion, 0
	.set _Z30fast_hadamard_transform_kernelI37fast_hadamard_transform_kernel_traitsILi256ELi14E14__hip_bfloat16EEv18HadamardParamsBase.has_indirect_call, 0
	.section	.AMDGPU.csdata,"",@progbits
; Kernel info:
; codeLenInByte = 19140
; TotalNumSgprs: 26
; NumVgprs: 138
; ScratchSize: 0
; MemoryBound: 0
; FloatMode: 240
; IeeeMode: 1
; LDSByteSize: 0 bytes/workgroup (compile time only)
; SGPRBlocks: 0
; VGPRBlocks: 17
; NumSGPRsForWavesPerEU: 26
; NumVGPRsForWavesPerEU: 138
; Occupancy: 7
; WaveLimiterHint : 0
; COMPUTE_PGM_RSRC2:SCRATCH_EN: 0
; COMPUTE_PGM_RSRC2:USER_SGPR: 6
; COMPUTE_PGM_RSRC2:TRAP_HANDLER: 0
; COMPUTE_PGM_RSRC2:TGID_X_EN: 1
; COMPUTE_PGM_RSRC2:TGID_Y_EN: 0
; COMPUTE_PGM_RSRC2:TGID_Z_EN: 0
; COMPUTE_PGM_RSRC2:TIDIG_COMP_CNT: 0
	.section	.text._Z30fast_hadamard_transform_kernelI37fast_hadamard_transform_kernel_traitsILi256ELi15E14__hip_bfloat16EEv18HadamardParamsBase,"axG",@progbits,_Z30fast_hadamard_transform_kernelI37fast_hadamard_transform_kernel_traitsILi256ELi15E14__hip_bfloat16EEv18HadamardParamsBase,comdat
	.protected	_Z30fast_hadamard_transform_kernelI37fast_hadamard_transform_kernel_traitsILi256ELi15E14__hip_bfloat16EEv18HadamardParamsBase ; -- Begin function _Z30fast_hadamard_transform_kernelI37fast_hadamard_transform_kernel_traitsILi256ELi15E14__hip_bfloat16EEv18HadamardParamsBase
	.globl	_Z30fast_hadamard_transform_kernelI37fast_hadamard_transform_kernel_traitsILi256ELi15E14__hip_bfloat16EEv18HadamardParamsBase
	.p2align	8
	.type	_Z30fast_hadamard_transform_kernelI37fast_hadamard_transform_kernel_traitsILi256ELi15E14__hip_bfloat16EEv18HadamardParamsBase,@function
_Z30fast_hadamard_transform_kernelI37fast_hadamard_transform_kernel_traitsILi256ELi15E14__hip_bfloat16EEv18HadamardParamsBase: ; @_Z30fast_hadamard_transform_kernelI37fast_hadamard_transform_kernel_traitsILi256ELi15E14__hip_bfloat16EEv18HadamardParamsBase
; %bb.0:
	s_clause 0x2
	s_load_dwordx4 s[24:27], s[4:5], 0x10
	s_load_dword s29, s[4:5], 0x4
	s_load_dwordx4 s[20:23], s[4:5], 0x28
	s_mov_b64 s[38:39], s[2:3]
	s_mov_b64 s[36:37], s[0:1]
	s_load_dword s0, s[4:5], 0x44
	s_add_u32 s36, s36, s7
	s_addc_u32 s37, s37, 0
	s_ashr_i32 s28, s6, 31
	v_lshlrev_b32_e32 v6, 3, v0
	v_mov_b32_e32 v1, 0
	v_mov_b32_e32 v2, 0
	;; [unrolled: 1-line block ×8, first 2 shown]
	v_lshlrev_b32_e32 v146, 4, v0
	v_mov_b32_e32 v15, 0
	s_waitcnt lgkmcnt(0)
	s_mul_hi_u32 s1, s24, s6
	s_mul_i32 s2, s24, s28
	s_mul_i32 s3, s25, s6
	s_add_i32 s1, s1, s2
	s_mul_i32 s2, s24, s6
	s_add_i32 s3, s1, s3
	v_cmp_gt_u32_e64 s16, s29, v6
	s_lshl_b64 s[2:3], s[2:3], 1
	s_add_u32 s18, s20, s2
	s_addc_u32 s19, s21, s3
	s_and_saveexec_b32 s1, s16
	s_cbranch_execz .LBB38_2
; %bb.1:
	global_load_dwordx4 v[11:14], v146, s[18:19]
	s_waitcnt vmcnt(0)
	v_lshlrev_b32_e32 v15, 16, v11
	v_and_b32_e32 v11, 0xffff0000, v11
	v_lshlrev_b32_e32 v8, 16, v12
	v_and_b32_e32 v7, 0xffff0000, v12
	;; [unrolled: 2-line block ×4, first 2 shown]
.LBB38_2:
	s_or_b32 exec_lo, exec_lo, s1
	s_and_b32 s20, 0xffff, s0
	v_mov_b32_e32 v6, 0
	v_add_nc_u32_e32 v12, s20, v0
	v_mov_b32_e32 v9, 0
	v_mov_b32_e32 v10, 0
	;; [unrolled: 1-line block ×4, first 2 shown]
	v_lshlrev_b32_e32 v13, 3, v12
	v_mov_b32_e32 v21, 0
	v_lshlrev_b32_e32 v14, 4, v12
	v_mov_b32_e32 v22, 0
	v_cmp_gt_u32_e64 s15, s29, v13
	buffer_store_dword v14, off, s[36:39], 0 offset:68 ; 4-byte Folded Spill
	s_and_saveexec_b32 s0, s15
	s_cbranch_execz .LBB38_4
; %bb.3:
	v_lshlrev_b32_e32 v1, 4, v12
	global_load_dwordx4 v[17:20], v1, s[18:19]
	s_waitcnt vmcnt(0)
	v_lshlrev_b32_e32 v22, 16, v17
	v_and_b32_e32 v21, 0xffff0000, v17
	v_lshlrev_b32_e32 v17, 16, v18
	v_and_b32_e32 v16, 0xffff0000, v18
	v_lshlrev_b32_e32 v10, 16, v19
	v_and_b32_e32 v9, 0xffff0000, v19
	v_lshlrev_b32_e32 v6, 16, v20
	v_and_b32_e32 v1, 0xffff0000, v20
.LBB38_4:
	s_or_b32 exec_lo, exec_lo, s0
	v_add_nc_u32_e32 v20, s20, v12
	v_mov_b32_e32 v12, 0
	v_mov_b32_e32 v13, 0
	v_mov_b32_e32 v14, 0
	v_mov_b32_e32 v18, 0
	v_lshlrev_b32_e32 v25, 3, v20
	v_mov_b32_e32 v19, 0
	v_mov_b32_e32 v23, 0
	v_mov_b32_e32 v24, 0
	v_lshlrev_b32_e32 v26, 4, v20
	v_cmp_gt_u32_e64 s14, s29, v25
	v_mov_b32_e32 v30, 0
	v_mov_b32_e32 v31, 0
	buffer_store_dword v26, off, s[36:39], 0 offset:64 ; 4-byte Folded Spill
	s_and_saveexec_b32 s0, s14
	s_cbranch_execz .LBB38_6
; %bb.5:
	v_lshlrev_b32_e32 v13, 4, v20
	global_load_dwordx4 v[24:27], v13, s[18:19]
	s_waitcnt vmcnt(0)
	v_lshlrev_b32_e32 v31, 16, v24
	v_and_b32_e32 v30, 0xffff0000, v24
	v_lshlrev_b32_e32 v24, 16, v25
	v_and_b32_e32 v23, 0xffff0000, v25
	v_lshlrev_b32_e32 v19, 16, v26
	v_and_b32_e32 v18, 0xffff0000, v26
	v_lshlrev_b32_e32 v14, 16, v27
	v_and_b32_e32 v13, 0xffff0000, v27
.LBB38_6:
	s_or_b32 exec_lo, exec_lo, s0
	v_add_nc_u32_e32 v27, s20, v20
	v_mov_b32_e32 v20, 0
	v_mov_b32_e32 v25, 0
	v_mov_b32_e32 v26, 0
	v_mov_b32_e32 v32, 0
	v_lshlrev_b32_e32 v28, 3, v27
	v_mov_b32_e32 v33, 0
	v_mov_b32_e32 v37, 0
	v_lshlrev_b32_e32 v29, 4, v27
	v_mov_b32_e32 v38, 0
	v_cmp_gt_u32_e64 s13, s29, v28
	buffer_store_dword v29, off, s[36:39], 0 offset:60 ; 4-byte Folded Spill
	s_and_saveexec_b32 s0, s13
	s_cbranch_execz .LBB38_8
; %bb.7:
	v_lshlrev_b32_e32 v12, 4, v27
	global_load_dwordx4 v[33:36], v12, s[18:19]
	s_waitcnt vmcnt(0)
	v_lshlrev_b32_e32 v38, 16, v33
	v_and_b32_e32 v37, 0xffff0000, v33
	v_lshlrev_b32_e32 v33, 16, v34
	v_and_b32_e32 v32, 0xffff0000, v34
	v_lshlrev_b32_e32 v26, 16, v35
	v_and_b32_e32 v25, 0xffff0000, v35
	v_lshlrev_b32_e32 v20, 16, v36
	v_and_b32_e32 v12, 0xffff0000, v36
.LBB38_8:
	s_or_b32 exec_lo, exec_lo, s0
	v_add_nc_u32_e32 v36, s20, v27
	v_mov_b32_e32 v27, 0
	v_mov_b32_e32 v28, 0
	v_mov_b32_e32 v29, 0
	v_mov_b32_e32 v34, 0
	v_lshlrev_b32_e32 v41, 3, v36
	v_mov_b32_e32 v35, 0
	v_mov_b32_e32 v39, 0
	v_mov_b32_e32 v40, 0
	v_lshlrev_b32_e32 v42, 4, v36
	v_cmp_gt_u32_e64 s12, s29, v41
	v_mov_b32_e32 v46, 0
	v_mov_b32_e32 v47, 0
	buffer_store_dword v42, off, s[36:39], 0 offset:56 ; 4-byte Folded Spill
	s_and_saveexec_b32 s0, s12
	s_cbranch_execz .LBB38_10
; %bb.9:
	v_lshlrev_b32_e32 v28, 4, v36
	global_load_dwordx4 v[40:43], v28, s[18:19]
	s_waitcnt vmcnt(0)
	v_lshlrev_b32_e32 v47, 16, v40
	v_and_b32_e32 v46, 0xffff0000, v40
	v_lshlrev_b32_e32 v40, 16, v41
	v_and_b32_e32 v39, 0xffff0000, v41
	v_lshlrev_b32_e32 v35, 16, v42
	v_and_b32_e32 v34, 0xffff0000, v42
	v_lshlrev_b32_e32 v29, 16, v43
	v_and_b32_e32 v28, 0xffff0000, v43
.LBB38_10:
	s_or_b32 exec_lo, exec_lo, s0
	v_add_nc_u32_e32 v43, s20, v36
	v_mov_b32_e32 v36, 0
	v_mov_b32_e32 v41, 0
	v_mov_b32_e32 v42, 0
	v_mov_b32_e32 v48, 0
	v_lshlrev_b32_e32 v44, 3, v43
	v_mov_b32_e32 v49, 0
	;; [unrolled: 58-line block ×6, first 2 shown]
	v_mov_b32_e32 v116, 0
	v_mov_b32_e32 v117, 0
	v_cmp_gt_u32_e64 s1, s29, v109
	s_and_saveexec_b32 s0, s1
	s_cbranch_execz .LBB38_28
; %bb.27:
	v_mov_b32_e32 v111, 0
	v_lshlrev_b64 v[105:106], 4, v[110:111]
	v_add_co_u32 v105, vcc_lo, s18, v105
	v_add_co_ci_u32_e64 v106, null, s19, v106, vcc_lo
	global_load_dwordx4 v[118:121], v[105:106], off
	s_waitcnt vmcnt(0)
	v_lshlrev_b32_e32 v117, 16, v118
	v_and_b32_e32 v116, 0xffff0000, v118
	v_lshlrev_b32_e32 v113, 16, v119
	v_and_b32_e32 v112, 0xffff0000, v119
	;; [unrolled: 2-line block ×4, first 2 shown]
.LBB38_28:
	s_or_b32 exec_lo, exec_lo, s0
	v_mov_b32_e32 v109, v110
	v_mov_b32_e32 v111, 0
	;; [unrolled: 1-line block ×5, first 2 shown]
	buffer_store_dword v109, off, s[36:39], 0 offset:16 ; 4-byte Folded Spill
	buffer_store_dword v110, off, s[36:39], 0 offset:20 ; 4-byte Folded Spill
	v_mov_b32_e32 v109, 0
	v_mov_b32_e32 v120, 0
	;; [unrolled: 1-line block ×4, first 2 shown]
	v_add_nc_u32_e32 v121, s20, v110
	v_mov_b32_e32 v110, 0
	v_lshlrev_b32_e32 v118, 3, v121
	v_cmp_gt_u32_e64 s0, s29, v118
	s_and_saveexec_b32 s21, s0
	s_cbranch_execz .LBB38_30
; %bb.29:
	v_mov_b32_e32 v122, 0
	v_lshlrev_b64 v[110:111], 4, v[121:122]
	v_add_co_u32 v110, vcc_lo, s18, v110
	v_add_co_ci_u32_e64 v111, null, s19, v111, vcc_lo
	global_load_dwordx4 v[125:128], v[110:111], off
	s_waitcnt vmcnt(0)
	v_lshlrev_b32_e32 v124, 16, v125
	v_and_b32_e32 v123, 0xffff0000, v125
	v_lshlrev_b32_e32 v120, 16, v126
	v_and_b32_e32 v119, 0xffff0000, v126
	;; [unrolled: 2-line block ×4, first 2 shown]
.LBB38_30:
	s_or_b32 exec_lo, exec_lo, s21
	v_add_nc_u32_e32 v125, s20, v121
	v_mov_b32_e32 v118, v121
	v_mov_b32_e32 v121, 0
	;; [unrolled: 1-line block ×5, first 2 shown]
	v_lshlrev_b32_e32 v128, 3, v125
	buffer_store_dword v118, off, s[36:39], 0 offset:8 ; 4-byte Folded Spill
	buffer_store_dword v119, off, s[36:39], 0 offset:12 ; 4-byte Folded Spill
	v_mov_b32_e32 v118, 0
	v_mov_b32_e32 v125, 0
	buffer_store_dword v122, off, s[36:39], 0 ; 4-byte Folded Spill
	buffer_store_dword v123, off, s[36:39], 0 offset:4 ; 4-byte Folded Spill
	v_mov_b32_e32 v122, 0
	v_cmp_gt_u32_e32 vcc_lo, s29, v128
	v_mov_b32_e32 v128, 0
	s_and_saveexec_b32 s20, vcc_lo
	s_cbranch_execz .LBB38_32
; %bb.31:
	s_clause 0x1
	buffer_load_dword v121, off, s[36:39], 0
	buffer_load_dword v122, off, s[36:39], 0 offset:4
	s_waitcnt vmcnt(0)
	v_mov_b32_e32 v122, 0
	v_mov_b32_e32 v109, v121
	v_lshlrev_b64 v[121:122], 4, v[121:122]
	buffer_store_dword v109, off, s[36:39], 0 ; 4-byte Folded Spill
	buffer_store_dword v110, off, s[36:39], 0 offset:4 ; 4-byte Folded Spill
	v_add_co_u32 v121, s18, s18, v121
	v_add_co_ci_u32_e64 v122, null, s19, v122, s18
	global_load_dwordx4 v[129:132], v[121:122], off
	s_waitcnt vmcnt(0)
	v_lshlrev_b32_e32 v128, 16, v129
	v_and_b32_e32 v127, 0xffff0000, v129
	v_lshlrev_b32_e32 v126, 16, v130
	v_and_b32_e32 v125, 0xffff0000, v130
	;; [unrolled: 2-line block ×4, first 2 shown]
.LBB38_32:
	s_or_b32 exec_lo, exec_lo, s20
	v_add_f32_e32 v129, v15, v11
	v_sub_f32_e32 v11, v15, v11
	v_add_f32_e32 v15, v22, v21
	v_sub_f32_e32 v21, v22, v21
	;; [unrolled: 2-line block ×112, first 2 shown]
	v_add_f32_e32 v111, v4, v2
	v_add_f32_e32 v127, v9, v1
	v_sub_f32_e32 v1, v9, v1
	v_add_f32_e32 v133, v25, v12
	v_add_f32_e32 v134, v34, v28
	;; [unrolled: 1-line block ×3, first 2 shown]
	v_sub_f32_e32 v27, v41, v27
	v_add_f32_e32 v41, v50, v44
	v_sub_f32_e32 v44, v50, v44
	v_add_f32_e32 v50, v57, v43
	;; [unrolled: 2-line block ×4, first 2 shown]
	v_sub_f32_e32 v18, v18, v13
	v_sub_f32_e32 v28, v34, v28
	;; [unrolled: 1-line block ×3, first 2 shown]
	v_add_f32_e32 v66, v73, v59
	v_sub_f32_e32 v59, v73, v59
	v_add_f32_e32 v136, v82, v76
	v_sub_f32_e32 v137, v82, v76
	;; [unrolled: 2-line block ×27, first 2 shown]
	v_mbcnt_lo_u32_b32 v1, -1, 0
	v_add_f32_e32 v82, v89, v75
	v_sub_f32_e32 v75, v89, v75
	v_add_f32_e32 v89, v98, v91
	v_sub_f32_e32 v91, v98, v91
	;; [unrolled: 2-line block ×9, first 2 shown]
	v_xor_b32_e32 v18, 1, v1
	s_load_dword s21, s[4:5], 0x20
	v_sub_f32_e32 v25, v25, v12
	v_add_f32_e32 v166, v70, v52
	v_sub_f32_e32 v168, v70, v52
	v_cmp_gt_i32_e64 s4, 32, v18
	v_add_f32_e32 v141, v5, v15
	v_add_f32_e32 v52, v37, v25
	v_sub_f32_e32 v54, v37, v25
	v_sub_f32_e32 v142, v15, v5
	v_cndmask_b32_e64 v18, v1, v18, s4
	v_add_f32_e32 v30, v98, v103
	v_sub_f32_e32 v15, v103, v98
	v_add_f32_e32 v98, v33, v19
	v_sub_f32_e32 v103, v33, v19
	v_lshlrev_b32_e32 v37, 2, v18
	v_and_b32_e32 v18, 1, v0
	v_add_f32_e32 v139, v3, v8
	v_sub_f32_e32 v140, v8, v3
	v_add_f32_e32 v13, v83, v101
	ds_bpermute_b32 v19, v37, v121
	v_sub_f32_e32 v12, v101, v83
	v_add_f32_e32 v5, v114, v119
	v_sub_f32_e32 v3, v119, v114
	v_add_f32_e32 v114, v38, v20
	;; [unrolled: 2-line block ×5, first 2 shown]
	v_add_f32_e32 v61, v39, v28
	v_sub_f32_e32 v63, v39, v28
	v_add_f32_e32 v68, v46, v27
	v_sub_f32_e32 v70, v46, v27
	v_cmp_eq_u32_e64 s5, 0, v18
	ds_bpermute_b32 v22, v37, v26
	ds_bpermute_b32 v23, v37, v41
	;; [unrolled: 1-line block ×4, first 2 shown]
	v_add_f32_e32 v164, v66, v71
	v_sub_f32_e32 v165, v71, v66
	v_add_f32_e32 v66, v24, v14
	v_sub_f32_e32 v71, v24, v14
	v_sub_f32_e32 v24, v131, v115
	v_cndmask_b32_e64 v21, -v121, v121, s5
	ds_bpermute_b32 v25, v37, v20
	v_add_f32_e32 v51, v9, v11
	v_sub_f32_e32 v56, v11, v9
	v_add_f32_e32 v86, v97, v84
	v_sub_f32_e32 v88, v97, v84
	;; [unrolled: 2-line block ×6, first 2 shown]
	s_waitcnt lgkmcnt(0)
	v_add_f32_e32 v19, v21, v19
	v_cndmask_b32_e64 v21, -v26, v26, s5
	v_cndmask_b32_e64 v26, -v41, v41, s5
	ds_bpermute_b32 v41, v37, v48
	ds_bpermute_b32 v43, v37, v24
	;; [unrolled: 1-line block ×4, first 2 shown]
	v_cndmask_b32_e64 v39, -v118, v118, s5
	v_cndmask_b32_e64 v40, -v40, v40, s5
	ds_bpermute_b32 v53, v37, v50
	v_add_f32_e32 v80, v82, v85
	v_sub_f32_e32 v82, v85, v82
	v_add_f32_e32 v85, v89, v96
	v_sub_f32_e32 v32, v96, v89
	v_cndmask_b32_e64 v20, -v20, v20, s5
	v_add_f32_e32 v96, v21, v22
	v_add_f32_e32 v97, v26, v23
	;; [unrolled: 1-line block ×4, first 2 shown]
	v_cndmask_b32_e64 v23, -v48, v48, s5
	v_cndmask_b32_e64 v26, -v42, v42, s5
	ds_bpermute_b32 v28, v37, v29
	ds_bpermute_b32 v39, v37, v129
	;; [unrolled: 1-line block ×5, first 2 shown]
	v_add_f32_e32 v20, v20, v25
	v_cndmask_b32_e64 v24, -v24, v24, s5
	v_cndmask_b32_e64 v25, -v138, v138, s5
	v_add_f32_e32 v176, v100, v91
	v_sub_f32_e32 v177, v100, v91
	v_cndmask_b32_e64 v27, -v50, v50, s5
	s_waitcnt lgkmcnt(9)
	v_add_f32_e32 v100, v23, v41
	s_waitcnt lgkmcnt(8)
	v_add_f32_e32 v101, v24, v43
	;; [unrolled: 2-line block ×4, first 2 shown]
	v_cndmask_b32_e64 v26, -v29, v29, s5
	v_cndmask_b32_e64 v29, -v49, v49, s5
	ds_bpermute_b32 v44, v37, v51
	ds_bpermute_b32 v49, v37, v45
	s_waitcnt lgkmcnt(7)
	v_add_f32_e32 v25, v27, v53
	v_cndmask_b32_e64 v27, -v129, v129, s5
	v_cndmask_b32_e64 v41, -v55, v55, s5
	;; [unrolled: 1-line block ×3, first 2 shown]
	ds_bpermute_b32 v43, v37, v139
	ds_bpermute_b32 v46, v37, v57
	;; [unrolled: 1-line block ×3, first 2 shown]
	v_add_f32_e32 v11, v105, v112
	v_sub_f32_e32 v10, v112, v105
	v_add_f32_e32 v33, v104, v90
	v_sub_f32_e32 v35, v104, v90
	s_waitcnt lgkmcnt(9)
	v_add_f32_e32 v104, v26, v28
	s_waitcnt lgkmcnt(8)
	v_add_f32_e32 v105, v27, v39
	;; [unrolled: 2-line block ×5, first 2 shown]
	v_cndmask_b32_e64 v36, -v51, v51, s5
	v_cndmask_b32_e64 v40, -v45, v45, s5
	ds_bpermute_b32 v42, v37, v56
	ds_bpermute_b32 v45, v37, v64
	;; [unrolled: 1-line block ×4, first 2 shown]
	v_add_f32_e32 v38, v123, v109
	v_sub_f32_e32 v18, v123, v109
	v_cndmask_b32_e64 v29, -v139, v139, s5
	v_cndmask_b32_e64 v39, -v57, v57, s5
	;; [unrolled: 1-line block ×3, first 2 shown]
	ds_bpermute_b32 v48, v37, v47
	s_waitcnt lgkmcnt(9)
	v_add_f32_e32 v109, v36, v44
	s_waitcnt lgkmcnt(8)
	v_add_f32_e32 v36, v40, v49
	ds_bpermute_b32 v49, v37, v52
	ds_bpermute_b32 v55, v37, v65
	v_add_f32_e32 v8, v92, v108
	v_sub_f32_e32 v6, v108, v92
	s_waitcnt lgkmcnt(9)
	v_add_f32_e32 v108, v29, v43
	s_waitcnt lgkmcnt(8)
	v_add_f32_e32 v29, v39, v46
	s_waitcnt lgkmcnt(7)
	v_add_f32_e32 v39, v41, v50
	v_cndmask_b32_e64 v40, -v56, v56, s5
	v_cndmask_b32_e64 v41, -v64, v64, s5
	;; [unrolled: 1-line block ×5, first 2 shown]
	ds_bpermute_b32 v47, v37, v66
	ds_bpermute_b32 v50, v37, v142
	;; [unrolled: 1-line block ×3, first 2 shown]
	s_waitcnt lgkmcnt(9)
	v_add_f32_e32 v112, v40, v42
	s_waitcnt lgkmcnt(8)
	v_add_f32_e32 v113, v41, v45
	;; [unrolled: 2-line block ×4, first 2 shown]
	ds_bpermute_b32 v51, v37, v54
	ds_bpermute_b32 v53, v37, v67
	;; [unrolled: 1-line block ×3, first 2 shown]
	v_cndmask_b32_e64 v44, -v52, v52, s5
	v_cndmask_b32_e64 v46, -v65, v65, s5
	ds_bpermute_b32 v52, v37, v143
	ds_bpermute_b32 v57, v37, v98
	v_add_f32_e32 v171, v132, v59
	v_sub_f32_e32 v132, v132, v59
	s_waitcnt lgkmcnt(10)
	v_add_f32_e32 v40, v43, v48
	v_cndmask_b32_e64 v43, -v66, v66, s5
	v_cndmask_b32_e64 v45, -v142, v142, s5
	;; [unrolled: 1-line block ×3, first 2 shown]
	s_waitcnt lgkmcnt(9)
	v_add_f32_e32 v117, v44, v49
	s_waitcnt lgkmcnt(8)
	v_add_f32_e32 v44, v46, v55
	ds_bpermute_b32 v55, v37, v72
	ds_bpermute_b32 v59, v37, v63
	v_add_f32_e32 v167, v69, v60
	v_sub_f32_e32 v170, v69, v60
	v_add_f32_e32 v90, v116, v110
	v_sub_f32_e32 v89, v116, v110
	s_waitcnt lgkmcnt(9)
	v_add_f32_e32 v116, v43, v47
	s_waitcnt lgkmcnt(8)
	v_add_f32_e32 v43, v45, v50
	;; [unrolled: 2-line block ×3, first 2 shown]
	v_cndmask_b32_e64 v46, -v54, v54, s5
	v_cndmask_b32_e64 v48, -v67, v67, s5
	;; [unrolled: 1-line block ×3, first 2 shown]
	ds_bpermute_b32 v54, v37, v144
	ds_bpermute_b32 v56, v37, v103
	;; [unrolled: 1-line block ×3, first 2 shown]
	v_cndmask_b32_e64 v47, -v143, v143, s5
	v_cndmask_b32_e64 v49, -v98, v98, s5
	s_waitcnt lgkmcnt(9)
	v_add_f32_e32 v120, v46, v51
	s_waitcnt lgkmcnt(8)
	v_add_f32_e32 v46, v48, v53
	;; [unrolled: 2-line block ×3, first 2 shown]
	ds_bpermute_b32 v58, v37, v114
	ds_bpermute_b32 v62, v37, v147
	s_waitcnt lgkmcnt(8)
	v_add_f32_e32 v121, v47, v52
	s_waitcnt lgkmcnt(7)
	v_add_f32_e32 v47, v49, v57
	v_cndmask_b32_e64 v50, -v72, v72, s5
	v_cndmask_b32_e64 v52, -v63, v63, s5
	ds_bpermute_b32 v57, v37, v95
	ds_bpermute_b32 v61, v37, v68
	;; [unrolled: 1-line block ×3, first 2 shown]
	v_cndmask_b32_e64 v49, -v144, v144, s5
	v_cndmask_b32_e64 v51, -v103, v103, s5
	;; [unrolled: 1-line block ×3, first 2 shown]
	s_waitcnt lgkmcnt(9)
	v_add_f32_e32 v125, v50, v55
	s_waitcnt lgkmcnt(8)
	v_add_f32_e32 v50, v52, v59
	ds_bpermute_b32 v59, v37, v119
	ds_bpermute_b32 v64, v37, v148
	;; [unrolled: 1-line block ×3, first 2 shown]
	s_waitcnt lgkmcnt(10)
	v_add_f32_e32 v124, v49, v54
	s_waitcnt lgkmcnt(9)
	v_add_f32_e32 v49, v51, v56
	;; [unrolled: 2-line block ×3, first 2 shown]
	v_cndmask_b32_e64 v53, -v114, v114, s5
	v_cndmask_b32_e64 v55, -v147, v147, s5
	ds_bpermute_b32 v60, v37, v70
	ds_bpermute_b32 v65, v37, v111
	v_cndmask_b32_e64 v52, -v95, v95, s5
	v_cndmask_b32_e64 v54, -v68, v68, s5
	v_cndmask_b32_e64 v56, -v102, v102, s5
	s_waitcnt lgkmcnt(9)
	v_add_f32_e32 v131, v53, v58
	s_waitcnt lgkmcnt(8)
	v_add_f32_e32 v53, v55, v62
	ds_bpermute_b32 v62, v37, v84
	ds_bpermute_b32 v67, v37, v127
	;; [unrolled: 1-line block ×3, first 2 shown]
	s_waitcnt lgkmcnt(10)
	v_add_f32_e32 v129, v52, v57
	s_waitcnt lgkmcnt(9)
	v_add_f32_e32 v52, v54, v61
	;; [unrolled: 2-line block ×3, first 2 shown]
	v_cndmask_b32_e64 v55, -v119, v119, s5
	v_cndmask_b32_e64 v57, -v148, v148, s5
	;; [unrolled: 1-line block ×3, first 2 shown]
	ds_bpermute_b32 v63, v37, v150
	ds_bpermute_b32 v68, v37, v126
	v_cndmask_b32_e64 v56, -v70, v70, s5
	v_cndmask_b32_e64 v58, -v111, v111, s5
	s_waitcnt lgkmcnt(9)
	v_add_f32_e32 v148, v55, v59
	s_waitcnt lgkmcnt(8)
	v_add_f32_e32 v55, v57, v64
	;; [unrolled: 2-line block ×3, first 2 shown]
	ds_bpermute_b32 v66, v37, v133
	ds_bpermute_b32 v71, v37, v106
	s_waitcnt lgkmcnt(8)
	v_add_f32_e32 v149, v56, v60
	s_waitcnt lgkmcnt(7)
	v_add_f32_e32 v56, v58, v65
	v_cndmask_b32_e64 v58, -v84, v84, s5
	v_cndmask_b32_e64 v60, -v127, v127, s5
	;; [unrolled: 1-line block ×3, first 2 shown]
	ds_bpermute_b32 v65, v37, v151
	ds_bpermute_b32 v70, v37, v128
	;; [unrolled: 1-line block ×3, first 2 shown]
	v_cndmask_b32_e64 v59, -v150, v150, s5
	v_cndmask_b32_e64 v61, -v126, v126, s5
	s_waitcnt lgkmcnt(9)
	v_add_f32_e32 v152, v58, v62
	s_waitcnt lgkmcnt(8)
	v_add_f32_e32 v58, v60, v67
	;; [unrolled: 2-line block ×3, first 2 shown]
	ds_bpermute_b32 v69, v37, v130
	ds_bpermute_b32 v84, v37, v157
	v_add_f32_e32 v173, v87, v137
	v_sub_f32_e32 v87, v87, v137
	v_add_f32_e32 v137, v94, v75
	v_sub_f32_e32 v94, v94, v75
	;; [unrolled: 2-line block ×3, first 2 shown]
	s_waitcnt lgkmcnt(8)
	v_add_f32_e32 v153, v59, v63
	s_waitcnt lgkmcnt(7)
	v_add_f32_e32 v59, v61, v68
	v_cndmask_b32_e64 v62, -v133, v133, s5
	v_cndmask_b32_e64 v64, -v106, v106, s5
	ds_bpermute_b32 v68, v37, v134
	ds_bpermute_b32 v75, v37, v115
	;; [unrolled: 1-line block ×3, first 2 shown]
	v_cndmask_b32_e64 v61, -v151, v151, s5
	v_cndmask_b32_e64 v63, -v128, v128, s5
	;; [unrolled: 1-line block ×3, first 2 shown]
	s_waitcnt lgkmcnt(9)
	v_add_f32_e32 v156, v62, v66
	s_waitcnt lgkmcnt(8)
	v_add_f32_e32 v62, v64, v71
	ds_bpermute_b32 v71, v37, v136
	ds_bpermute_b32 v95, v37, v160
	;; [unrolled: 1-line block ×3, first 2 shown]
	s_waitcnt lgkmcnt(10)
	v_add_f32_e32 v155, v61, v65
	s_waitcnt lgkmcnt(9)
	v_add_f32_e32 v61, v63, v70
	;; [unrolled: 2-line block ×3, first 2 shown]
	v_cndmask_b32_e64 v65, -v130, v130, s5
	v_cndmask_b32_e64 v67, -v157, v157, s5
	ds_bpermute_b32 v72, v37, v167
	ds_bpermute_b32 v98, v37, v162
	v_cndmask_b32_e64 v64, -v134, v134, s5
	v_cndmask_b32_e64 v66, -v115, v115, s5
	;; [unrolled: 1-line block ×3, first 2 shown]
	s_waitcnt lgkmcnt(9)
	v_add_f32_e32 v159, v65, v69
	s_waitcnt lgkmcnt(8)
	v_add_f32_e32 v65, v67, v84
	ds_bpermute_b32 v84, v37, v170
	ds_bpermute_b32 v102, v37, v164
	;; [unrolled: 1-line block ×3, first 2 shown]
	s_waitcnt lgkmcnt(10)
	v_add_f32_e32 v158, v64, v68
	s_waitcnt lgkmcnt(9)
	v_add_f32_e32 v64, v66, v75
	;; [unrolled: 2-line block ×3, first 2 shown]
	v_cndmask_b32_e64 v67, -v136, v136, s5
	v_cndmask_b32_e64 v69, -v160, v160, s5
	;; [unrolled: 1-line block ×3, first 2 shown]
	ds_bpermute_b32 v93, v37, v161
	ds_bpermute_b32 v103, v37, v166
	v_cndmask_b32_e64 v68, -v167, v167, s5
	v_cndmask_b32_e64 v70, -v162, v162, s5
	s_waitcnt lgkmcnt(9)
	v_add_f32_e32 v162, v67, v71
	s_waitcnt lgkmcnt(8)
	v_add_f32_e32 v67, v69, v95
	;; [unrolled: 2-line block ×3, first 2 shown]
	ds_bpermute_b32 v99, v37, v165
	s_waitcnt lgkmcnt(7)
	v_add_f32_e32 v163, v68, v72
	s_waitcnt lgkmcnt(6)
	v_add_f32_e32 v68, v70, v98
	v_cndmask_b32_e64 v70, -v170, v170, s5
	v_cndmask_b32_e64 v72, -v164, v164, s5
	;; [unrolled: 1-line block ×3, first 2 shown]
	ds_bpermute_b32 v98, v37, v74
	ds_bpermute_b32 v107, v37, v168
	;; [unrolled: 1-line block ×3, first 2 shown]
	v_cndmask_b32_e64 v71, -v161, v161, s5
	v_cndmask_b32_e64 v75, -v166, v166, s5
	ds_bpermute_b32 v111, v37, v73
	s_waitcnt lgkmcnt(9)
	v_add_f32_e32 v166, v70, v84
	s_waitcnt lgkmcnt(8)
	v_add_f32_e32 v70, v72, v102
	;; [unrolled: 2-line block ×3, first 2 shown]
	ds_bpermute_b32 v102, v37, v78
	ds_bpermute_b32 v106, v37, v173
	;; [unrolled: 1-line block ×3, first 2 shown]
	s_waitcnt lgkmcnt(9)
	v_add_f32_e32 v167, v71, v93
	s_waitcnt lgkmcnt(8)
	v_add_f32_e32 v71, v75, v103
	v_cndmask_b32_e64 v75, -v165, v165, s5
	ds_bpermute_b32 v114, v37, v76
	v_cndmask_b32_e64 v74, -v74, v74, s5
	v_cndmask_b32_e64 v84, -v168, v168, s5
	;; [unrolled: 1-line block ×3, first 2 shown]
	ds_bpermute_b32 v103, v37, v169
	s_waitcnt lgkmcnt(9)
	v_add_f32_e32 v171, v75, v99
	ds_bpermute_b32 v99, v37, v81
	v_cndmask_b32_e64 v95, -v73, v73, s5
	s_waitcnt lgkmcnt(9)
	v_add_f32_e32 v170, v74, v98
	s_waitcnt lgkmcnt(8)
	v_add_f32_e32 v73, v84, v107
	;; [unrolled: 2-line block ×3, first 2 shown]
	v_cndmask_b32_e64 v78, -v78, v78, s5
	v_cndmask_b32_e64 v93, -v173, v173, s5
	;; [unrolled: 1-line block ×3, first 2 shown]
	ds_bpermute_b32 v107, v37, v87
	ds_bpermute_b32 v110, v37, v79
	;; [unrolled: 1-line block ×3, first 2 shown]
	s_waitcnt lgkmcnt(9)
	v_add_f32_e32 v75, v95, v111
	v_cndmask_b32_e64 v95, -v76, v76, s5
	s_waitcnt lgkmcnt(8)
	v_add_f32_e32 v174, v78, v102
	s_waitcnt lgkmcnt(7)
	v_add_f32_e32 v76, v93, v106
	;; [unrolled: 2-line block ×3, first 2 shown]
	ds_bpermute_b32 v93, v37, v137
	ds_bpermute_b32 v98, v37, v82
	v_cndmask_b32_e64 v84, -v169, v169, s5
	s_waitcnt lgkmcnt(7)
	v_add_f32_e32 v77, v95, v114
	v_cndmask_b32_e64 v81, -v81, v81, s5
	ds_bpermute_b32 v95, v37, v34
	ds_bpermute_b32 v102, v37, v83
	s_waitcnt lgkmcnt(8)
	v_add_f32_e32 v175, v84, v103
	v_cndmask_b32_e64 v84, -v87, v87, s5
	v_cndmask_b32_e64 v79, -v79, v79, s5
	;; [unrolled: 1-line block ×3, first 2 shown]
	s_waitcnt lgkmcnt(7)
	v_add_f32_e32 v178, v81, v99
	ds_bpermute_b32 v99, v37, v85
	ds_bpermute_b32 v103, v37, v94
	s_waitcnt lgkmcnt(8)
	v_add_f32_e32 v179, v84, v107
	s_waitcnt lgkmcnt(7)
	v_add_f32_e32 v79, v79, v110
	;; [unrolled: 2-line block ×3, first 2 shown]
	v_cndmask_b32_e64 v84, -v137, v137, s5
	v_cndmask_b32_e64 v82, -v82, v82, s5
	;; [unrolled: 1-line block ×3, first 2 shown]
	ds_bpermute_b32 v94, v37, v31
	ds_bpermute_b32 v110, v37, v17
	v_cndmask_b32_e64 v34, -v34, v34, s5
	v_cndmask_b32_e64 v83, -v83, v83, s5
	ds_bpermute_b32 v106, v37, v86
	s_waitcnt lgkmcnt(8)
	v_add_f32_e32 v182, v84, v93
	s_waitcnt lgkmcnt(7)
	v_add_f32_e32 v82, v82, v98
	ds_bpermute_b32 v93, v37, v32
	ds_bpermute_b32 v98, v37, v177
	s_waitcnt lgkmcnt(8)
	v_add_f32_e32 v183, v34, v95
	s_waitcnt lgkmcnt(7)
	v_add_f32_e32 v83, v83, v102
	v_cndmask_b32_e64 v34, -v85, v85, s5
	ds_bpermute_b32 v95, v37, v88
	ds_bpermute_b32 v102, v37, v13
	v_cndmask_b32_e64 v31, -v31, v31, s5
	v_cndmask_b32_e64 v17, -v17, v17, s5
	s_waitcnt lgkmcnt(8)
	v_add_f32_e32 v187, v34, v99
	ds_bpermute_b32 v34, v37, v33
	ds_bpermute_b32 v99, v37, v15
	s_waitcnt lgkmcnt(9)
	v_add_f32_e32 v84, v87, v103
	v_cndmask_b32_e64 v85, -v86, v86, s5
	ds_bpermute_b32 v103, v37, v30
	s_waitcnt lgkmcnt(9)
	v_add_f32_e32 v186, v31, v94
	s_waitcnt lgkmcnt(8)
	v_add_f32_e32 v87, v17, v110
	v_cndmask_b32_e64 v17, -v32, v32, s5
	v_cndmask_b32_e64 v31, -v88, v88, s5
	;; [unrolled: 1-line block ×3, first 2 shown]
	ds_bpermute_b32 v88, v37, v92
	ds_bpermute_b32 v94, v37, v12
	s_waitcnt lgkmcnt(9)
	v_add_f32_e32 v85, v85, v106
	v_cndmask_b32_e64 v13, -v13, v13, s5
	v_cndmask_b32_e64 v106, -v30, v30, s5
	s_waitcnt lgkmcnt(8)
	v_add_f32_e32 v190, v17, v93
	s_waitcnt lgkmcnt(7)
	v_add_f32_e32 v30, v32, v98
	v_cndmask_b32_e64 v17, -v92, v92, s5
	ds_bpermute_b32 v92, v37, v35
	ds_bpermute_b32 v98, v37, v11
	s_waitcnt lgkmcnt(8)
	v_add_f32_e32 v191, v31, v95
	s_waitcnt lgkmcnt(7)
	v_add_f32_e32 v31, v13, v102
	v_cndmask_b32_e64 v13, -v33, v33, s5
	ds_bpermute_b32 v93, v37, v91
	ds_bpermute_b32 v95, v37, v8
	v_cndmask_b32_e64 v15, -v15, v15, s5
	ds_bpermute_b32 v102, v37, v16
	v_cndmask_b32_e64 v12, -v12, v12, s5
	s_waitcnt lgkmcnt(9)
	v_add_f32_e32 v194, v13, v34
	s_waitcnt lgkmcnt(7)
	v_add_f32_e32 v32, v106, v103
	v_add_f32_e32 v34, v15, v99
	ds_bpermute_b32 v15, v37, v90
	s_waitcnt lgkmcnt(7)
	v_add_f32_e32 v195, v17, v88
	s_waitcnt lgkmcnt(6)
	v_add_f32_e32 v33, v12, v94
	v_cndmask_b32_e64 v12, -v35, v35, s5
	ds_bpermute_b32 v17, v37, v6
	ds_bpermute_b32 v94, v37, v10
	;; [unrolled: 1-line block ×4, first 2 shown]
	v_cndmask_b32_e64 v11, -v11, v11, s5
	v_cndmask_b32_e64 v13, -v91, v91, s5
	;; [unrolled: 1-line block ×3, first 2 shown]
	s_waitcnt lgkmcnt(9)
	v_add_f32_e32 v198, v12, v92
	v_cndmask_b32_e64 v12, -v16, v16, s5
	s_waitcnt lgkmcnt(8)
	v_add_f32_e32 v35, v11, v98
	ds_bpermute_b32 v11, v37, v4
	s_waitcnt lgkmcnt(8)
	v_add_f32_e32 v91, v13, v93
	s_waitcnt lgkmcnt(7)
	v_add_f32_e32 v92, v8, v95
	;; [unrolled: 2-line block ×3, first 2 shown]
	v_cndmask_b32_e64 v12, -v90, v90, s5
	ds_bpermute_b32 v13, v37, v5
	v_cndmask_b32_e64 v6, -v6, v6, s5
	v_cndmask_b32_e64 v10, -v10, v10, s5
	;; [unrolled: 1-line block ×4, first 2 shown]
	s_waitcnt lgkmcnt(6)
	v_add_f32_e32 v88, v12, v15
	v_xor_b32_e32 v15, 2, v1
	s_waitcnt lgkmcnt(5)
	v_add_f32_e32 v89, v6, v17
	s_waitcnt lgkmcnt(4)
	v_add_f32_e32 v90, v10, v94
	;; [unrolled: 2-line block ×4, first 2 shown]
	v_cndmask_b32_e64 v4, -v4, v4, s5
	ds_bpermute_b32 v14, v37, v38
	ds_bpermute_b32 v16, v37, v2
	v_cmp_gt_i32_e64 s4, 32, v15
	v_cndmask_b32_e64 v17, -v5, v5, s5
	s_waitcnt lgkmcnt(3)
	v_add_f32_e32 v5, v4, v11
	ds_bpermute_b32 v12, v37, v9
	ds_bpermute_b32 v98, v37, v3
	v_cndmask_b32_e64 v11, v1, v15, s4
	s_waitcnt lgkmcnt(4)
	v_add_f32_e32 v4, v17, v13
	v_cndmask_b32_e64 v13, -v38, v38, s5
	v_cndmask_b32_e64 v2, -v2, v2, s5
	ds_bpermute_b32 v15, v37, v18
	v_lshlrev_b32_e32 v38, 2, v11
	ds_bpermute_b32 v11, v37, v7
	v_and_b32_e32 v17, 2, v0
	v_cndmask_b32_e64 v9, -v9, v9, s5
	v_cndmask_b32_e64 v3, -v3, v3, s5
	ds_bpermute_b32 v99, v38, v19
	ds_bpermute_b32 v102, v38, v96
	;; [unrolled: 1-line block ×3, first 2 shown]
	s_waitcnt lgkmcnt(8)
	v_add_f32_e32 v94, v13, v14
	s_waitcnt lgkmcnt(7)
	v_add_f32_e32 v95, v2, v16
	v_cmp_eq_u32_e64 s18, 0, v17
	v_cndmask_b32_e64 v2, -v7, v7, s5
	v_cndmask_b32_e64 v7, -v18, v18, s5
	ds_bpermute_b32 v14, v38, v20
	ds_bpermute_b32 v17, v38, v22
	;; [unrolled: 1-line block ×3, first 2 shown]
	s_waitcnt lgkmcnt(9)
	v_add_f32_e32 v93, v9, v12
	v_cndmask_b32_e64 v9, -v19, v19, s18
	v_cndmask_b32_e64 v12, -v96, v96, s18
	ds_bpermute_b32 v16, v38, v21
	ds_bpermute_b32 v19, v38, v101
	;; [unrolled: 1-line block ×3, first 2 shown]
	s_waitcnt lgkmcnt(11)
	v_add_f32_e32 v3, v3, v98
	v_cndmask_b32_e64 v13, -v97, v97, s18
	s_waitcnt lgkmcnt(9)
	v_add_f32_e32 v96, v2, v11
	v_add_f32_e32 v97, v7, v15
	s_waitcnt lgkmcnt(8)
	v_add_f32_e32 v98, v9, v99
	s_waitcnt lgkmcnt(7)
	v_add_f32_e32 v99, v12, v102
	v_cndmask_b32_e64 v2, -v20, v20, s18
	v_cndmask_b32_e64 v9, -v21, v21, s18
	;; [unrolled: 1-line block ×4, first 2 shown]
	ds_bpermute_b32 v15, v38, v23
	ds_bpermute_b32 v20, v38, v24
	;; [unrolled: 1-line block ×4, first 2 shown]
	s_waitcnt lgkmcnt(10)
	v_add_f32_e32 v7, v13, v103
	ds_bpermute_b32 v110, v38, v105
	s_waitcnt lgkmcnt(10)
	v_add_f32_e32 v100, v2, v14
	s_waitcnt lgkmcnt(9)
	v_add_f32_e32 v102, v11, v17
	;; [unrolled: 2-line block ×3, first 2 shown]
	v_cndmask_b32_e64 v2, -v23, v23, s18
	ds_bpermute_b32 v17, v38, v27
	ds_bpermute_b32 v18, v38, v28
	ds_bpermute_b32 v23, v38, v109
	v_cndmask_b32_e64 v13, -v101, v101, s18
	ds_bpermute_b32 v111, v37, v80
	v_cndmask_b32_e64 v86, -v176, v176, s5
	s_waitcnt lgkmcnt(11)
	v_add_f32_e32 v101, v9, v16
	v_cndmask_b32_e64 v11, -v24, v24, s18
	s_waitcnt lgkmcnt(10)
	v_add_f32_e32 v9, v13, v19
	v_cndmask_b32_e64 v12, -v25, v25, s18
	v_cndmask_b32_e64 v13, -v104, v104, s18
	ds_bpermute_b32 v16, v38, v26
	ds_bpermute_b32 v19, v38, v108
	;; [unrolled: 1-line block ×3, first 2 shown]
	s_waitcnt lgkmcnt(12)
	v_add_f32_e32 v86, v86, v107
	v_cndmask_b32_e64 v14, -v105, v105, s18
	s_waitcnt lgkmcnt(11)
	v_add_f32_e32 v104, v2, v15
	s_waitcnt lgkmcnt(10)
	v_add_f32_e32 v105, v11, v20
	;; [unrolled: 2-line block ×4, first 2 shown]
	v_cndmask_b32_e64 v12, -v27, v27, s18
	v_cndmask_b32_e64 v13, -v28, v28, s18
	;; [unrolled: 1-line block ×3, first 2 shown]
	ds_bpermute_b32 v20, v38, v29
	ds_bpermute_b32 v21, v38, v36
	;; [unrolled: 1-line block ×4, first 2 shown]
	s_waitcnt lgkmcnt(11)
	v_add_f32_e32 v11, v14, v110
	v_cndmask_b32_e64 v2, -v26, v26, s18
	s_waitcnt lgkmcnt(10)
	v_add_f32_e32 v109, v12, v17
	s_waitcnt lgkmcnt(9)
	v_add_f32_e32 v110, v13, v18
	s_waitcnt lgkmcnt(8)
	v_add_f32_e32 v12, v15, v23
	ds_bpermute_b32 v18, v38, v41
	ds_bpermute_b32 v23, v38, v116
	ds_bpermute_b32 v26, v38, v117
	v_cndmask_b32_e64 v80, -v80, v80, s5
	v_cndmask_b32_e64 v14, -v108, v108, s18
	;; [unrolled: 1-line block ×3, first 2 shown]
	s_waitcnt lgkmcnt(9)
	v_add_f32_e32 v108, v2, v16
	v_cndmask_b32_e64 v2, -v29, v29, s18
	v_add_f32_e32 v80, v80, v111
	s_waitcnt lgkmcnt(8)
	v_add_f32_e32 v111, v14, v19
	v_cndmask_b32_e64 v13, -v36, v36, s18
	v_cndmask_b32_e64 v14, -v39, v39, s18
	;; [unrolled: 1-line block ×3, first 2 shown]
	ds_bpermute_b32 v17, v38, v40
	ds_bpermute_b32 v19, v38, v42
	s_waitcnt lgkmcnt(9)
	v_add_f32_e32 v115, v15, v24
	ds_bpermute_b32 v24, v38, v45
	s_waitcnt lgkmcnt(9)
	v_add_f32_e32 v112, v2, v20
	s_waitcnt lgkmcnt(8)
	v_add_f32_e32 v113, v13, v21
	;; [unrolled: 2-line block ×4, first 2 shown]
	v_cndmask_b32_e64 v14, -v41, v41, s18
	v_cndmask_b32_e64 v16, -v116, v116, s18
	;; [unrolled: 1-line block ×3, first 2 shown]
	ds_bpermute_b32 v22, v38, v44
	ds_bpermute_b32 v25, v38, v120
	;; [unrolled: 1-line block ×4, first 2 shown]
	s_waitcnt lgkmcnt(9)
	v_add_f32_e32 v117, v14, v18
	s_waitcnt lgkmcnt(8)
	v_add_f32_e32 v119, v16, v23
	;; [unrolled: 2-line block ×3, first 2 shown]
	ds_bpermute_b32 v23, v38, v48
	ds_bpermute_b32 v26, v38, v124
	v_cndmask_b32_e64 v2, -v40, v40, s18
	v_cndmask_b32_e64 v15, -v42, v42, s18
	;; [unrolled: 1-line block ×3, first 2 shown]
	ds_bpermute_b32 v20, v38, v47
	ds_bpermute_b32 v28, v38, v125
	s_waitcnt lgkmcnt(10)
	v_add_f32_e32 v116, v2, v17
	s_waitcnt lgkmcnt(9)
	v_add_f32_e32 v118, v15, v19
	v_cndmask_b32_e64 v15, -v44, v44, s18
	v_cndmask_b32_e64 v17, -v120, v120, s18
	;; [unrolled: 1-line block ×3, first 2 shown]
	ds_bpermute_b32 v19, v38, v46
	s_waitcnt lgkmcnt(9)
	v_add_f32_e32 v122, v16, v24
	ds_bpermute_b32 v24, v38, v50
	ds_bpermute_b32 v29, v38, v131
	v_cndmask_b32_e64 v2, -v43, v43, s18
	s_waitcnt lgkmcnt(10)
	v_add_f32_e32 v121, v15, v22
	s_waitcnt lgkmcnt(9)
	v_add_f32_e32 v123, v17, v25
	;; [unrolled: 2-line block ×3, first 2 shown]
	v_cndmask_b32_e64 v17, -v48, v48, s18
	v_cndmask_b32_e64 v18, -v124, v124, s18
	ds_bpermute_b32 v22, v38, v49
	ds_bpermute_b32 v25, v38, v51
	;; [unrolled: 1-line block ×3, first 2 shown]
	s_waitcnt lgkmcnt(10)
	v_add_f32_e32 v120, v2, v21
	v_cndmask_b32_e64 v16, -v47, v47, s18
	v_cndmask_b32_e64 v21, -v125, v125, s18
	s_waitcnt lgkmcnt(9)
	v_add_f32_e32 v126, v17, v23
	s_waitcnt lgkmcnt(8)
	v_add_f32_e32 v127, v18, v26
	ds_bpermute_b32 v23, v38, v53
	ds_bpermute_b32 v26, v38, v54
	;; [unrolled: 1-line block ×3, first 2 shown]
	v_cndmask_b32_e64 v2, -v46, v46, s18
	s_waitcnt lgkmcnt(10)
	v_add_f32_e32 v125, v16, v20
	s_waitcnt lgkmcnt(9)
	v_add_f32_e32 v16, v21, v28
	v_cndmask_b32_e64 v17, -v50, v50, s18
	v_cndmask_b32_e64 v20, -v131, v131, s18
	ds_bpermute_b32 v21, v38, v52
	ds_bpermute_b32 v28, v38, v148
	s_waitcnt lgkmcnt(10)
	v_add_f32_e32 v124, v2, v19
	v_cndmask_b32_e64 v2, -v49, v49, s18
	v_cndmask_b32_e64 v18, -v51, v51, s18
	;; [unrolled: 1-line block ×3, first 2 shown]
	s_waitcnt lgkmcnt(9)
	v_add_f32_e32 v131, v17, v24
	s_waitcnt lgkmcnt(8)
	v_add_f32_e32 v17, v20, v29
	ds_bpermute_b32 v29, v38, v152
	s_waitcnt lgkmcnt(8)
	v_add_f32_e32 v129, v2, v22
	s_waitcnt lgkmcnt(7)
	v_add_f32_e32 v133, v18, v25
	;; [unrolled: 2-line block ×3, first 2 shown]
	v_cndmask_b32_e64 v18, -v53, v53, s18
	v_cndmask_b32_e64 v19, -v54, v54, s18
	;; [unrolled: 1-line block ×3, first 2 shown]
	ds_bpermute_b32 v24, v38, v55
	ds_bpermute_b32 v25, v38, v56
	ds_bpermute_b32 v27, v38, v57
	ds_bpermute_b32 v39, v38, v153
	v_cndmask_b32_e64 v2, -v52, v52, s18
	v_cndmask_b32_e64 v20, -v148, v148, s18
	s_waitcnt lgkmcnt(9)
	v_add_f32_e32 v149, v18, v23
	s_waitcnt lgkmcnt(8)
	v_add_f32_e32 v150, v19, v26
	;; [unrolled: 2-line block ×3, first 2 shown]
	ds_bpermute_b32 v26, v38, v59
	ds_bpermute_b32 v36, v38, v155
	;; [unrolled: 1-line block ×3, first 2 shown]
	s_waitcnt lgkmcnt(9)
	v_add_f32_e32 v148, v2, v21
	s_waitcnt lgkmcnt(8)
	v_add_f32_e32 v151, v20, v28
	v_cndmask_b32_e64 v21, -v152, v152, s18
	ds_bpermute_b32 v28, v38, v60
	v_cndmask_b32_e64 v2, -v55, v55, s18
	v_cndmask_b32_e64 v19, -v56, v56, s18
	;; [unrolled: 1-line block ×4, first 2 shown]
	ds_bpermute_b32 v23, v38, v58
	s_waitcnt lgkmcnt(9)
	v_add_f32_e32 v154, v21, v29
	ds_bpermute_b32 v29, v38, v63
	s_waitcnt lgkmcnt(9)
	v_add_f32_e32 v57, v2, v24
	s_waitcnt lgkmcnt(8)
	v_add_f32_e32 v152, v19, v25
	;; [unrolled: 2-line block ×4, first 2 shown]
	v_cndmask_b32_e64 v20, -v59, v59, s18
	v_cndmask_b32_e64 v22, -v155, v155, s18
	;; [unrolled: 1-line block ×3, first 2 shown]
	ds_bpermute_b32 v27, v38, v62
	ds_bpermute_b32 v39, v38, v158
	;; [unrolled: 1-line block ×3, first 2 shown]
	v_cndmask_b32_e64 v21, -v60, v60, s18
	ds_bpermute_b32 v25, v38, v61
	s_waitcnt lgkmcnt(9)
	v_add_f32_e32 v155, v20, v26
	s_waitcnt lgkmcnt(8)
	v_add_f32_e32 v157, v22, v36
	;; [unrolled: 2-line block ×3, first 2 shown]
	ds_bpermute_b32 v36, v38, v66
	ds_bpermute_b32 v40, v38, v162
	v_cndmask_b32_e64 v2, -v58, v58, s18
	s_waitcnt lgkmcnt(8)
	v_add_f32_e32 v156, v21, v28
	v_cndmask_b32_e64 v22, -v63, v63, s18
	ds_bpermute_b32 v26, v38, v64
	ds_bpermute_b32 v28, v38, v65
	;; [unrolled: 1-line block ×3, first 2 shown]
	s_waitcnt lgkmcnt(10)
	v_add_f32_e32 v58, v2, v23
	v_cndmask_b32_e64 v21, -v62, v62, s18
	v_cndmask_b32_e64 v23, -v158, v158, s18
	v_cndmask_b32_e64 v24, -v159, v159, s18
	s_waitcnt lgkmcnt(9)
	v_add_f32_e32 v160, v22, v29
	ds_bpermute_b32 v29, v38, v68
	ds_bpermute_b32 v43, v38, v167
	v_cndmask_b32_e64 v2, -v61, v61, s18
	s_waitcnt lgkmcnt(10)
	v_add_f32_e32 v159, v21, v27
	s_waitcnt lgkmcnt(9)
	v_add_f32_e32 v161, v23, v39
	;; [unrolled: 2-line block ×3, first 2 shown]
	v_cndmask_b32_e64 v23, -v66, v66, s18
	v_cndmask_b32_e64 v24, -v162, v162, s18
	ds_bpermute_b32 v27, v38, v67
	ds_bpermute_b32 v39, v38, v69
	;; [unrolled: 1-line block ×3, first 2 shown]
	s_waitcnt lgkmcnt(10)
	v_add_f32_e32 v158, v2, v25
	v_cndmask_b32_e64 v2, -v64, v64, s18
	v_cndmask_b32_e64 v22, -v65, v65, s18
	;; [unrolled: 1-line block ×3, first 2 shown]
	s_waitcnt lgkmcnt(9)
	v_add_f32_e32 v164, v23, v36
	s_waitcnt lgkmcnt(8)
	v_add_f32_e32 v165, v24, v40
	ds_bpermute_b32 v36, v38, v71
	ds_bpermute_b32 v40, v38, v72
	;; [unrolled: 1-line block ×3, first 2 shown]
	s_waitcnt lgkmcnt(10)
	v_add_f32_e32 v162, v2, v26
	s_waitcnt lgkmcnt(9)
	v_add_f32_e32 v163, v22, v28
	;; [unrolled: 2-line block ×3, first 2 shown]
	v_cndmask_b32_e64 v23, -v68, v68, s18
	v_cndmask_b32_e64 v26, -v167, v167, s18
	ds_bpermute_b32 v42, v38, v170
	v_cndmask_b32_e64 v2, -v67, v67, s18
	v_cndmask_b32_e64 v24, -v69, v69, s18
	;; [unrolled: 1-line block ×3, first 2 shown]
	ds_bpermute_b32 v28, v38, v70
	s_waitcnt lgkmcnt(9)
	v_add_f32_e32 v167, v23, v29
	s_waitcnt lgkmcnt(8)
	v_add_f32_e32 v23, v26, v43
	ds_bpermute_b32 v43, v38, v174
	s_waitcnt lgkmcnt(8)
	v_add_f32_e32 v166, v2, v27
	s_waitcnt lgkmcnt(7)
	v_add_f32_e32 v168, v24, v39
	;; [unrolled: 2-line block ×3, first 2 shown]
	v_cndmask_b32_e64 v24, -v71, v71, s18
	v_cndmask_b32_e64 v25, -v72, v72, s18
	;; [unrolled: 1-line block ×3, first 2 shown]
	ds_bpermute_b32 v29, v38, v73
	ds_bpermute_b32 v39, v38, v74
	;; [unrolled: 1-line block ×4, first 2 shown]
	v_cndmask_b32_e64 v26, -v170, v170, s18
	s_waitcnt lgkmcnt(9)
	v_add_f32_e32 v171, v24, v36
	s_waitcnt lgkmcnt(8)
	v_add_f32_e32 v172, v25, v40
	;; [unrolled: 2-line block ×3, first 2 shown]
	ds_bpermute_b32 v40, v38, v77
	ds_bpermute_b32 v44, v38, v178
	;; [unrolled: 1-line block ×3, first 2 shown]
	v_cndmask_b32_e64 v2, -v70, v70, s18
	s_waitcnt lgkmcnt(9)
	v_add_f32_e32 v173, v26, v42
	v_cndmask_b32_e64 v27, -v174, v174, s18
	ds_bpermute_b32 v42, v38, v78
	v_cndmask_b32_e64 v25, -v74, v74, s18
	s_waitcnt lgkmcnt(9)
	v_add_f32_e32 v170, v2, v28
	v_cndmask_b32_e64 v2, -v73, v73, s18
	v_cndmask_b32_e64 v26, -v75, v75, s18
	v_cndmask_b32_e64 v28, -v175, v175, s18
	ds_bpermute_b32 v36, v38, v76
	s_waitcnt lgkmcnt(9)
	v_add_f32_e32 v177, v27, v43
	ds_bpermute_b32 v43, v38, v81
	s_waitcnt lgkmcnt(9)
	v_add_f32_e32 v174, v2, v29
	s_waitcnt lgkmcnt(8)
	v_add_f32_e32 v175, v25, v39
	;; [unrolled: 2-line block ×4, first 2 shown]
	v_cndmask_b32_e64 v26, -v77, v77, s18
	v_cndmask_b32_e64 v28, -v178, v178, s18
	;; [unrolled: 1-line block ×3, first 2 shown]
	ds_bpermute_b32 v41, v38, v80
	ds_bpermute_b32 v45, v38, v182
	ds_bpermute_b32 v47, v38, v183
	v_cndmask_b32_e64 v27, -v78, v78, s18
	ds_bpermute_b32 v39, v38, v79
	s_waitcnt lgkmcnt(9)
	v_add_f32_e32 v179, v26, v40
	s_waitcnt lgkmcnt(8)
	v_add_f32_e32 v181, v28, v44
	s_waitcnt lgkmcnt(7)
	v_add_f32_e32 v26, v29, v46
	ds_bpermute_b32 v44, v38, v84
	ds_bpermute_b32 v46, v38, v186
	v_cndmask_b32_e64 v2, -v76, v76, s18
	s_waitcnt lgkmcnt(8)
	v_add_f32_e32 v180, v27, v42
	v_cndmask_b32_e64 v28, -v81, v81, s18
	ds_bpermute_b32 v40, v38, v82
	ds_bpermute_b32 v42, v38, v83
	s_waitcnt lgkmcnt(9)
	v_add_f32_e32 v178, v2, v36
	v_cndmask_b32_e64 v27, -v80, v80, s18
	v_cndmask_b32_e64 v29, -v182, v182, s18
	;; [unrolled: 1-line block ×3, first 2 shown]
	ds_bpermute_b32 v48, v38, v187
	s_waitcnt lgkmcnt(9)
	v_add_f32_e32 v184, v28, v43
	ds_bpermute_b32 v43, v38, v86
	ds_bpermute_b32 v49, v38, v191
	v_cndmask_b32_e64 v2, -v79, v79, s18
	s_waitcnt lgkmcnt(10)
	v_add_f32_e32 v183, v27, v41
	s_waitcnt lgkmcnt(9)
	v_add_f32_e32 v185, v29, v45
	;; [unrolled: 2-line block ×3, first 2 shown]
	v_cndmask_b32_e64 v29, -v84, v84, s18
	v_cndmask_b32_e64 v36, -v186, v186, s18
	ds_bpermute_b32 v41, v38, v85
	ds_bpermute_b32 v45, v38, v87
	;; [unrolled: 1-line block ×3, first 2 shown]
	s_waitcnt lgkmcnt(10)
	v_add_f32_e32 v182, v2, v39
	v_cndmask_b32_e64 v2, -v82, v82, s18
	v_cndmask_b32_e64 v28, -v83, v83, s18
	s_waitcnt lgkmcnt(9)
	v_add_f32_e32 v188, v29, v44
	s_waitcnt lgkmcnt(8)
	v_add_f32_e32 v189, v36, v46
	ds_bpermute_b32 v44, v38, v31
	ds_bpermute_b32 v46, v38, v32
	;; [unrolled: 1-line block ×3, first 2 shown]
	v_cndmask_b32_e64 v39, -v187, v187, s18
	s_waitcnt lgkmcnt(10)
	v_add_f32_e32 v186, v2, v40
	s_waitcnt lgkmcnt(9)
	v_add_f32_e32 v187, v28, v42
	v_cndmask_b32_e64 v29, -v86, v86, s18
	v_cndmask_b32_e64 v40, -v191, v191, s18
	ds_bpermute_b32 v42, v38, v30
	s_waitcnt lgkmcnt(9)
	v_add_f32_e32 v28, v39, v48
	v_cndmask_b32_e64 v2, -v85, v85, s18
	v_cndmask_b32_e64 v36, -v87, v87, s18
	;; [unrolled: 1-line block ×3, first 2 shown]
	s_waitcnt lgkmcnt(8)
	v_add_f32_e32 v191, v29, v43
	s_waitcnt lgkmcnt(7)
	v_add_f32_e32 v29, v40, v49
	ds_bpermute_b32 v40, v38, v34
	ds_bpermute_b32 v48, v38, v194
	s_waitcnt lgkmcnt(8)
	v_add_f32_e32 v190, v2, v41
	s_waitcnt lgkmcnt(7)
	v_add_f32_e32 v192, v36, v45
	;; [unrolled: 2-line block ×3, first 2 shown]
	v_cndmask_b32_e64 v2, -v30, v30, s18
	v_cndmask_b32_e64 v30, -v31, v31, s18
	;; [unrolled: 1-line block ×4, first 2 shown]
	ds_bpermute_b32 v39, v38, v33
	ds_bpermute_b32 v41, v38, v198
	;; [unrolled: 1-line block ×4, first 2 shown]
	s_waitcnt lgkmcnt(9)
	v_add_f32_e32 v195, v30, v44
	s_waitcnt lgkmcnt(8)
	v_add_f32_e32 v196, v31, v46
	;; [unrolled: 2-line block ×3, first 2 shown]
	v_cndmask_b32_e64 v31, -v34, v34, s18
	ds_bpermute_b32 v34, v38, v35
	ds_bpermute_b32 v36, v38, v8
	v_cndmask_b32_e64 v32, -v194, v194, s18
	s_waitcnt lgkmcnt(8)
	v_add_f32_e32 v194, v2, v42
	ds_bpermute_b32 v42, v38, v88
	ds_bpermute_b32 v44, v38, v89
	v_cndmask_b32_e64 v2, -v33, v33, s18
	s_waitcnt lgkmcnt(9)
	v_add_f32_e32 v202, v31, v40
	ds_bpermute_b32 v40, v38, v6
	s_waitcnt lgkmcnt(9)
	v_add_f32_e32 v197, v32, v48
	v_cndmask_b32_e64 v32, -v198, v198, s18
	v_cndmask_b32_e64 v33, -v91, v91, s18
	;; [unrolled: 1-line block ×3, first 2 shown]
	s_waitcnt lgkmcnt(8)
	v_add_f32_e32 v201, v2, v39
	v_cndmask_b32_e64 v2, -v35, v35, s18
	v_cndmask_b32_e64 v8, -v8, v8, s18
	ds_bpermute_b32 v46, v38, v90
	s_waitcnt lgkmcnt(8)
	v_add_f32_e32 v203, v32, v41
	s_waitcnt lgkmcnt(7)
	v_add_f32_e32 v33, v33, v43
	;; [unrolled: 2-line block ×3, first 2 shown]
	ds_bpermute_b32 v41, v38, v10
	ds_bpermute_b32 v43, v38, v5
	v_cndmask_b32_e64 v32, -v88, v88, s18
	v_cndmask_b32_e64 v45, -v89, v89, s18
	s_waitcnt lgkmcnt(7)
	v_add_f32_e32 v39, v2, v34
	s_waitcnt lgkmcnt(6)
	v_add_f32_e32 v34, v8, v36
	v_xor_b32_e32 v36, 4, v1
	s_waitcnt lgkmcnt(5)
	v_add_f32_e32 v35, v32, v42
	s_waitcnt lgkmcnt(4)
	v_add_f32_e32 v32, v45, v44
	v_cndmask_b32_e64 v6, -v6, v6, s18
	v_cndmask_b32_e64 v8, -v10, v10, s18
	ds_bpermute_b32 v10, v38, v4
	ds_bpermute_b32 v44, v38, v94
	;; [unrolled: 1-line block ×3, first 2 shown]
	v_cmp_gt_i32_e64 s4, 32, v36
	s_waitcnt lgkmcnt(6)
	v_add_f32_e32 v204, v6, v40
	v_cndmask_b32_e64 v47, -v90, v90, s18
	v_cndmask_b32_e64 v5, -v5, v5, s18
	ds_bpermute_b32 v42, v38, v93
	v_cndmask_b32_e64 v6, v1, v36, s4
	s_waitcnt lgkmcnt(5)
	v_add_f32_e32 v205, v8, v41
	v_add_f32_e32 v2, v47, v46
	s_waitcnt lgkmcnt(4)
	v_add_f32_e32 v5, v5, v43
	v_cndmask_b32_e64 v4, -v4, v4, s18
	v_lshlrev_b32_e32 v48, 2, v6
	v_cndmask_b32_e64 v41, -v94, v94, s18
	v_cndmask_b32_e64 v43, -v95, v95, s18
	ds_bpermute_b32 v6, v38, v3
	ds_bpermute_b32 v47, v38, v97
	;; [unrolled: 1-line block ×4, first 2 shown]
	v_and_b32_e32 v49, 4, v0
	s_waitcnt lgkmcnt(7)
	v_add_f32_e32 v36, v4, v10
	s_waitcnt lgkmcnt(6)
	v_add_f32_e32 v41, v41, v44
	;; [unrolled: 2-line block ×3, first 2 shown]
	ds_bpermute_b32 v44, v48, v7
	ds_bpermute_b32 v45, v48, v100
	;; [unrolled: 1-line block ×3, first 2 shown]
	v_cndmask_b32_e64 v8, -v93, v93, s18
	ds_bpermute_b32 v46, v38, v96
	v_cmp_eq_u32_e64 s4, 0, v49
	v_cndmask_b32_e64 v3, -v3, v3, s18
	v_cndmask_b32_e64 v10, -v97, v97, s18
	s_waitcnt lgkmcnt(8)
	v_add_f32_e32 v40, v8, v42
	ds_bpermute_b32 v49, v48, v101
	v_cndmask_b32_e64 v42, -v98, v98, s4
	v_cndmask_b32_e64 v43, -v99, v99, s4
	ds_bpermute_b32 v52, v48, v102
	s_waitcnt lgkmcnt(9)
	v_add_f32_e32 v198, v3, v6
	s_waitcnt lgkmcnt(8)
	v_add_f32_e32 v200, v10, v47
	s_waitcnt lgkmcnt(7)
	v_add_f32_e32 v42, v42, v50
	s_waitcnt lgkmcnt(6)
	v_add_f32_e32 v6, v43, v51
	v_cndmask_b32_e64 v3, -v7, v7, s4
	v_cndmask_b32_e64 v7, -v100, v100, s4
	v_cndmask_b32_e64 v47, -v103, v103, s4
	ds_bpermute_b32 v50, v48, v9
	ds_bpermute_b32 v51, v48, v104
	;; [unrolled: 1-line block ×5, first 2 shown]
	v_cndmask_b32_e64 v8, -v96, v96, s18
	s_waitcnt lgkmcnt(10)
	v_add_f32_e32 v43, v3, v44
	s_waitcnt lgkmcnt(9)
	v_add_f32_e32 v44, v7, v45
	;; [unrolled: 2-line block ×3, first 2 shown]
	ds_bpermute_b32 v53, v48, v11
	ds_bpermute_b32 v59, v48, v108
	;; [unrolled: 1-line block ×5, first 2 shown]
	s_waitcnt lgkmcnt(12)
	v_add_f32_e32 v199, v8, v46
	v_cndmask_b32_e64 v8, -v101, v101, s4
	v_cndmask_b32_e64 v10, -v102, v102, s4
	ds_bpermute_b32 v63, v48, v12
	ds_bpermute_b32 v64, v48, v112
	;; [unrolled: 1-line block ×5, first 2 shown]
	s_waitcnt lgkmcnt(16)
	v_add_f32_e32 v45, v8, v49
	s_waitcnt lgkmcnt(15)
	v_add_f32_e32 v46, v10, v52
	v_cndmask_b32_e64 v3, -v9, v9, s4
	v_cndmask_b32_e64 v8, -v104, v104, s4
	v_cndmask_b32_e64 v9, -v105, v105, s4
	v_cndmask_b32_e64 v10, -v106, v106, s4
	v_cndmask_b32_e64 v52, -v107, v107, s4
	ds_bpermute_b32 v69, v48, v116
	ds_bpermute_b32 v71, v48, v118
	;; [unrolled: 1-line block ×3, first 2 shown]
	s_waitcnt lgkmcnt(17)
	v_add_f32_e32 v47, v3, v50
	s_waitcnt lgkmcnt(16)
	v_add_f32_e32 v49, v8, v51
	;; [unrolled: 2-line block ×5, first 2 shown]
	v_cndmask_b32_e64 v3, -v11, v11, s4
	v_cndmask_b32_e64 v9, -v108, v108, s4
	v_cndmask_b32_e64 v10, -v109, v109, s4
	v_cndmask_b32_e64 v11, -v110, v110, s4
	v_cndmask_b32_e64 v56, -v111, v111, s4
	s_waitcnt lgkmcnt(12)
	v_add_f32_e32 v52, v3, v53
	s_waitcnt lgkmcnt(11)
	v_add_f32_e32 v53, v9, v59
	s_waitcnt lgkmcnt(10)
	v_add_f32_e32 v54, v10, v60
	s_waitcnt lgkmcnt(9)
	v_add_f32_e32 v55, v11, v61
	s_waitcnt lgkmcnt(8)
	v_add_f32_e32 v9, v56, v62
	v_cndmask_b32_e64 v3, -v12, v12, s4
	v_cndmask_b32_e64 v10, -v112, v112, s4
	;; [unrolled: 1-line block ×5, first 2 shown]
	ds_bpermute_b32 v68, v48, v13
	ds_bpermute_b32 v70, v48, v117
	s_waitcnt lgkmcnt(9)
	v_add_f32_e32 v56, v3, v63
	s_waitcnt lgkmcnt(8)
	v_add_f32_e32 v59, v10, v64
	;; [unrolled: 2-line block ×5, first 2 shown]
	v_cndmask_b32_e64 v3, -v13, v13, s4
	v_cndmask_b32_e64 v11, -v116, v116, s4
	;; [unrolled: 1-line block ×4, first 2 shown]
	ds_bpermute_b32 v67, v48, v14
	ds_bpermute_b32 v73, v48, v120
	;; [unrolled: 1-line block ×5, first 2 shown]
	s_waitcnt lgkmcnt(9)
	v_add_f32_e32 v63, v11, v69
	s_waitcnt lgkmcnt(8)
	v_add_f32_e32 v65, v13, v71
	;; [unrolled: 2-line block ×3, first 2 shown]
	ds_bpermute_b32 v71, v48, v15
	ds_bpermute_b32 v72, v48, v124
	;; [unrolled: 1-line block ×3, first 2 shown]
	v_cndmask_b32_e64 v12, -v117, v117, s4
	s_waitcnt lgkmcnt(9)
	v_add_f32_e32 v62, v3, v68
	v_cndmask_b32_e64 v3, -v14, v14, s4
	v_cndmask_b32_e64 v13, -v121, v121, s4
	;; [unrolled: 1-line block ×3, first 2 shown]
	s_waitcnt lgkmcnt(8)
	v_add_f32_e32 v64, v12, v70
	v_cndmask_b32_e64 v12, -v120, v120, s4
	v_cndmask_b32_e64 v70, -v123, v123, s4
	ds_bpermute_b32 v77, v48, v125
	ds_bpermute_b32 v78, v48, v126
	s_waitcnt lgkmcnt(9)
	v_add_f32_e32 v66, v3, v67
	s_waitcnt lgkmcnt(8)
	v_add_f32_e32 v67, v12, v73
	;; [unrolled: 2-line block ×5, first 2 shown]
	v_cndmask_b32_e64 v3, -v15, v15, s4
	v_cndmask_b32_e64 v13, -v124, v124, s4
	v_cndmask_b32_e64 v74, -v127, v127, s4
	ds_bpermute_b32 v75, v48, v16
	ds_bpermute_b32 v76, v48, v129
	;; [unrolled: 1-line block ×5, first 2 shown]
	s_waitcnt lgkmcnt(9)
	v_add_f32_e32 v70, v3, v71
	s_waitcnt lgkmcnt(8)
	v_add_f32_e32 v71, v13, v72
	;; [unrolled: 2-line block ×3, first 2 shown]
	ds_bpermute_b32 v79, v48, v17
	ds_bpermute_b32 v83, v48, v148
	;; [unrolled: 1-line block ×4, first 2 shown]
	v_cndmask_b32_e64 v14, -v125, v125, s4
	v_cndmask_b32_e64 v15, -v126, v126, s4
	ds_bpermute_b32 v84, v48, v149
	ds_bpermute_b32 v89, v48, v152
	v_cndmask_b32_e64 v3, -v16, v16, s4
	s_waitcnt lgkmcnt(12)
	v_add_f32_e32 v72, v14, v77
	s_waitcnt lgkmcnt(11)
	v_add_f32_e32 v73, v15, v78
	v_cndmask_b32_e64 v14, -v129, v129, s4
	v_cndmask_b32_e64 v15, -v131, v131, s4
	;; [unrolled: 1-line block ×4, first 2 shown]
	s_waitcnt lgkmcnt(10)
	v_add_f32_e32 v74, v3, v75
	s_waitcnt lgkmcnt(9)
	v_add_f32_e32 v75, v14, v76
	;; [unrolled: 2-line block ×4, first 2 shown]
	v_cndmask_b32_e64 v3, -v17, v17, s4
	v_cndmask_b32_e64 v15, -v148, v148, s4
	;; [unrolled: 1-line block ×4, first 2 shown]
	ds_bpermute_b32 v87, v48, v18
	s_waitcnt lgkmcnt(7)
	v_add_f32_e32 v77, v16, v81
	v_cndmask_b32_e64 v16, -v149, v149, s4
	s_waitcnt lgkmcnt(6)
	v_add_f32_e32 v78, v3, v79
	s_waitcnt lgkmcnt(5)
	v_add_f32_e32 v79, v15, v83
	;; [unrolled: 2-line block ×4, first 2 shown]
	v_cndmask_b32_e64 v17, -v152, v152, s4
	ds_bpermute_b32 v86, v48, v19
	ds_bpermute_b32 v94, v48, v156
	;; [unrolled: 1-line block ×5, first 2 shown]
	s_waitcnt lgkmcnt(7)
	v_add_f32_e32 v80, v16, v84
	ds_bpermute_b32 v92, v48, v58
	s_waitcnt lgkmcnt(7)
	v_add_f32_e32 v84, v17, v89
	v_cndmask_b32_e64 v17, -v58, v58, s4
	ds_bpermute_b32 v58, v48, v20
	v_cndmask_b32_e64 v3, -v18, v18, s4
	ds_bpermute_b32 v95, v48, v157
	v_cndmask_b32_e64 v16, -v57, v57, s4
	v_cndmask_b32_e64 v18, -v153, v153, s4
	;; [unrolled: 1-line block ×3, first 2 shown]
	s_waitcnt lgkmcnt(8)
	v_add_f32_e32 v82, v3, v87
	v_cndmask_b32_e64 v3, -v19, v19, s4
	v_cndmask_b32_e64 v19, -v156, v156, s4
	ds_bpermute_b32 v93, v48, v155
	ds_bpermute_b32 v96, v48, v159
	;; [unrolled: 1-line block ×3, first 2 shown]
	s_waitcnt lgkmcnt(10)
	v_add_f32_e32 v86, v3, v86
	s_waitcnt lgkmcnt(9)
	v_add_f32_e32 v89, v19, v94
	v_cndmask_b32_e64 v3, -v20, v20, s4
	ds_bpermute_b32 v94, v48, v21
	s_waitcnt lgkmcnt(9)
	v_add_f32_e32 v83, v16, v88
	s_waitcnt lgkmcnt(8)
	v_add_f32_e32 v85, v18, v90
	;; [unrolled: 2-line block ×3, first 2 shown]
	v_cndmask_b32_e64 v57, -v157, v157, s4
	ds_bpermute_b32 v91, v48, v158
	ds_bpermute_b32 v98, v48, v161
	s_waitcnt lgkmcnt(7)
	v_add_f32_e32 v90, v3, v58
	ds_bpermute_b32 v58, v48, v22
	v_add_f32_e32 v87, v17, v92
	s_waitcnt lgkmcnt(7)
	v_add_f32_e32 v17, v57, v95
	ds_bpermute_b32 v95, v48, v162
	ds_bpermute_b32 v99, v48, v163
	;; [unrolled: 1-line block ×4, first 2 shown]
	v_cndmask_b32_e64 v18, -v155, v155, s4
	v_cndmask_b32_e64 v3, -v21, v21, s4
	ds_bpermute_b32 v102, v48, v166
	ds_bpermute_b32 v103, v48, v167
	;; [unrolled: 1-line block ×3, first 2 shown]
	s_waitcnt lgkmcnt(13)
	v_add_f32_e32 v88, v18, v93
	v_cndmask_b32_e64 v18, -v158, v158, s4
	v_cndmask_b32_e64 v19, -v159, v159, s4
	;; [unrolled: 1-line block ×4, first 2 shown]
	s_waitcnt lgkmcnt(10)
	v_add_f32_e32 v94, v3, v94
	v_cndmask_b32_e64 v3, -v22, v22, s4
	ds_bpermute_b32 v106, v48, v23
	ds_bpermute_b32 v107, v48, v170
	;; [unrolled: 1-line block ×3, first 2 shown]
	s_waitcnt lgkmcnt(12)
	v_add_f32_e32 v91, v18, v91
	v_add_f32_e32 v92, v19, v96
	;; [unrolled: 1-line block ×3, first 2 shown]
	s_waitcnt lgkmcnt(11)
	v_add_f32_e32 v18, v57, v98
	v_cndmask_b32_e64 v19, -v162, v162, s4
	v_cndmask_b32_e64 v20, -v163, v163, s4
	;; [unrolled: 1-line block ×4, first 2 shown]
	ds_bpermute_b32 v104, v48, v168
	s_waitcnt lgkmcnt(11)
	v_add_f32_e32 v98, v3, v58
	ds_bpermute_b32 v58, v48, v24
	s_waitcnt lgkmcnt(11)
	v_add_f32_e32 v95, v19, v95
	s_waitcnt lgkmcnt(10)
	v_add_f32_e32 v96, v20, v99
	;; [unrolled: 2-line block ×4, first 2 shown]
	v_cndmask_b32_e64 v20, -v166, v166, s4
	v_cndmask_b32_e64 v21, -v167, v167, s4
	;; [unrolled: 1-line block ×3, first 2 shown]
	ds_bpermute_b32 v108, v48, v171
	ds_bpermute_b32 v109, v48, v172
	s_waitcnt lgkmcnt(9)
	v_add_f32_e32 v99, v20, v102
	s_waitcnt lgkmcnt(8)
	v_add_f32_e32 v100, v21, v103
	;; [unrolled: 2-line block ×3, first 2 shown]
	v_cndmask_b32_e64 v3, -v23, v23, s4
	v_cndmask_b32_e64 v21, -v170, v170, s4
	v_cndmask_b32_e64 v57, -v173, v173, s4
	ds_bpermute_b32 v111, v48, v174
	ds_bpermute_b32 v112, v48, v175
	;; [unrolled: 1-line block ×3, first 2 shown]
	v_cndmask_b32_e64 v22, -v168, v168, s4
	s_waitcnt lgkmcnt(9)
	v_add_f32_e32 v102, v3, v106
	s_waitcnt lgkmcnt(8)
	v_add_f32_e32 v103, v21, v107
	s_waitcnt lgkmcnt(7)
	v_add_f32_e32 v21, v57, v110
	v_cndmask_b32_e64 v3, -v24, v24, s4
	ds_bpermute_b32 v110, v48, v25
	ds_bpermute_b32 v115, v48, v178
	;; [unrolled: 1-line block ×3, first 2 shown]
	s_waitcnt lgkmcnt(9)
	v_add_f32_e32 v101, v22, v104
	v_cndmask_b32_e64 v22, -v171, v171, s4
	v_cndmask_b32_e64 v23, -v172, v172, s4
	ds_bpermute_b32 v113, v48, v176
	s_waitcnt lgkmcnt(9)
	v_add_f32_e32 v106, v3, v58
	ds_bpermute_b32 v58, v48, v26
	s_waitcnt lgkmcnt(9)
	v_add_f32_e32 v104, v22, v108
	s_waitcnt lgkmcnt(8)
	v_add_f32_e32 v105, v23, v109
	v_cndmask_b32_e64 v22, -v174, v174, s4
	v_cndmask_b32_e64 v23, -v175, v175, s4
	;; [unrolled: 1-line block ×3, first 2 shown]
	ds_bpermute_b32 v116, v48, v179
	ds_bpermute_b32 v117, v48, v180
	s_waitcnt lgkmcnt(9)
	v_add_f32_e32 v107, v22, v111
	s_waitcnt lgkmcnt(8)
	v_add_f32_e32 v108, v23, v112
	;; [unrolled: 2-line block ×3, first 2 shown]
	v_cndmask_b32_e64 v3, -v25, v25, s4
	v_cndmask_b32_e64 v23, -v178, v178, s4
	;; [unrolled: 1-line block ×3, first 2 shown]
	ds_bpermute_b32 v119, v48, v182
	ds_bpermute_b32 v120, v48, v183
	;; [unrolled: 1-line block ×4, first 2 shown]
	v_cndmask_b32_e64 v24, -v176, v176, s4
	s_waitcnt lgkmcnt(10)
	v_add_f32_e32 v110, v3, v110
	s_waitcnt lgkmcnt(9)
	v_add_f32_e32 v111, v23, v115
	;; [unrolled: 2-line block ×3, first 2 shown]
	v_cndmask_b32_e64 v3, -v26, v26, s4
	ds_bpermute_b32 v118, v48, v27
	ds_bpermute_b32 v123, v48, v186
	;; [unrolled: 1-line block ×4, first 2 shown]
	s_waitcnt lgkmcnt(11)
	v_add_f32_e32 v109, v24, v113
	v_cndmask_b32_e64 v24, -v179, v179, s4
	v_cndmask_b32_e64 v25, -v180, v180, s4
	ds_bpermute_b32 v125, v48, v188
	s_waitcnt lgkmcnt(11)
	v_add_f32_e32 v114, v3, v58
	ds_bpermute_b32 v58, v48, v28
	ds_bpermute_b32 v127, v48, v190
	;; [unrolled: 1-line block ×3, first 2 shown]
	s_waitcnt lgkmcnt(13)
	v_add_f32_e32 v112, v24, v116
	s_waitcnt lgkmcnt(12)
	v_add_f32_e32 v113, v25, v117
	v_cndmask_b32_e64 v24, -v182, v182, s4
	v_cndmask_b32_e64 v25, -v183, v183, s4
	;; [unrolled: 1-line block ×4, first 2 shown]
	ds_bpermute_b32 v128, v48, v191
	s_waitcnt lgkmcnt(12)
	v_add_f32_e32 v115, v24, v119
	s_waitcnt lgkmcnt(11)
	v_add_f32_e32 v116, v25, v120
	;; [unrolled: 2-line block ×4, first 2 shown]
	v_cndmask_b32_e64 v3, -v27, v27, s4
	v_cndmask_b32_e64 v25, -v186, v186, s4
	;; [unrolled: 1-line block ×4, first 2 shown]
	ds_bpermute_b32 v129, v48, v192
	ds_bpermute_b32 v131, v48, v194
	;; [unrolled: 1-line block ×3, first 2 shown]
	v_cndmask_b32_e64 v27, -v188, v188, s4
	s_waitcnt lgkmcnt(11)
	v_add_f32_e32 v118, v3, v118
	s_waitcnt lgkmcnt(10)
	v_add_f32_e32 v119, v25, v123
	;; [unrolled: 2-line block ×4, first 2 shown]
	v_cndmask_b32_e64 v3, -v28, v28, s4
	v_cndmask_b32_e64 v26, -v190, v190, s4
	;; [unrolled: 1-line block ×3, first 2 shown]
	ds_bpermute_b32 v126, v48, v29
	ds_bpermute_b32 v132, v48, v195
	ds_bpermute_b32 v133, v48, v196
	s_waitcnt lgkmcnt(10)
	v_add_f32_e32 v121, v27, v125
	v_cndmask_b32_e64 v27, -v191, v191, s4
	s_waitcnt lgkmcnt(9)
	v_add_f32_e32 v122, v3, v58
	s_waitcnt lgkmcnt(8)
	v_add_f32_e32 v123, v26, v127
	;; [unrolled: 2-line block ×3, first 2 shown]
	ds_bpermute_b32 v58, v48, v30
	ds_bpermute_b32 v130, v48, v202
	v_cndmask_b32_e64 v28, -v192, v192, s4
	s_waitcnt lgkmcnt(8)
	v_add_f32_e32 v124, v27, v128
	v_cndmask_b32_e64 v27, -v194, v194, s4
	v_cndmask_b32_e64 v57, -v197, v197, s4
	ds_bpermute_b32 v128, v48, v201
	s_waitcnt lgkmcnt(8)
	v_add_f32_e32 v125, v28, v129
	v_cndmask_b32_e64 v3, -v29, v29, s4
	v_cndmask_b32_e64 v28, -v195, v195, s4
	;; [unrolled: 1-line block ×3, first 2 shown]
	ds_bpermute_b32 v135, v48, v203
	ds_bpermute_b32 v136, v48, v33
	s_waitcnt lgkmcnt(9)
	v_add_f32_e32 v127, v27, v131
	s_waitcnt lgkmcnt(8)
	v_add_f32_e32 v27, v57, v134
	ds_bpermute_b32 v134, v48, v34
	s_waitcnt lgkmcnt(8)
	v_add_f32_e32 v126, v3, v126
	s_waitcnt lgkmcnt(7)
	v_add_f32_e32 v129, v28, v132
	;; [unrolled: 2-line block ×3, first 2 shown]
	v_cndmask_b32_e64 v3, -v30, v30, s4
	v_cndmask_b32_e64 v29, -v202, v202, s4
	ds_bpermute_b32 v132, v48, v39
	v_cndmask_b32_e64 v28, -v201, v201, s4
	ds_bpermute_b32 v57, v48, v31
	s_waitcnt lgkmcnt(7)
	v_add_f32_e32 v133, v3, v58
	s_waitcnt lgkmcnt(6)
	v_add_f32_e32 v148, v29, v130
	v_cndmask_b32_e64 v3, -v31, v31, s4
	ds_bpermute_b32 v29, v48, v2
	ds_bpermute_b32 v31, v48, v204
	v_cndmask_b32_e64 v30, -v203, v203, s4
	ds_bpermute_b32 v138, v48, v32
	v_cndmask_b32_e64 v33, -v33, v33, s4
	s_waitcnt lgkmcnt(8)
	v_add_f32_e32 v147, v28, v128
	v_cndmask_b32_e64 v34, -v34, v34, s4
	ds_bpermute_b32 v128, v48, v5
	ds_bpermute_b32 v137, v48, v35
	s_waitcnt lgkmcnt(9)
	v_add_f32_e32 v149, v30, v135
	s_waitcnt lgkmcnt(8)
	v_add_f32_e32 v28, v33, v136
	v_cndmask_b32_e64 v30, -v39, v39, s4
	ds_bpermute_b32 v33, v48, v205
	v_cndmask_b32_e64 v39, -v35, v35, s4
	s_waitcnt lgkmcnt(8)
	v_add_f32_e32 v35, v34, v134
	v_xor_b32_e32 v134, 8, v1
	s_waitcnt lgkmcnt(7)
	v_add_f32_e32 v58, v30, v132
	v_cndmask_b32_e64 v2, -v2, v2, s4
	v_cndmask_b32_e64 v30, -v204, v204, s4
	ds_bpermute_b32 v34, v48, v36
	ds_bpermute_b32 v130, v48, v40
	v_cmp_gt_i32_e64 s19, 32, v134
	v_cndmask_b32_e64 v32, -v32, v32, s4
	s_waitcnt lgkmcnt(7)
	v_add_f32_e32 v182, v2, v29
	v_cndmask_b32_e64 v2, -v5, v5, s4
	s_waitcnt lgkmcnt(6)
	v_add_f32_e32 v183, v30, v31
	v_cndmask_b32_e64 v29, v1, v134, s19
	v_cndmask_b32_e64 v31, -v40, v40, s4
	ds_bpermute_b32 v40, v48, v200
	v_add_f32_e32 v57, v3, v57
	s_waitcnt lgkmcnt(6)
	v_add_f32_e32 v3, v32, v138
	v_cndmask_b32_e64 v32, -v205, v205, s4
	s_waitcnt lgkmcnt(5)
	v_add_f32_e32 v173, v2, v128
	v_lshlrev_b32_e32 v2, 2, v29
	ds_bpermute_b32 v132, v48, v41
	v_cndmask_b32_e64 v30, -v36, v36, s4
	s_waitcnt lgkmcnt(4)
	v_add_f32_e32 v5, v32, v33
	v_cndmask_b32_e64 v32, -v41, v41, s4
	ds_bpermute_b32 v29, v48, v4
	ds_bpermute_b32 v33, v48, v198
	;; [unrolled: 1-line block ×4, first 2 shown]
	s_waitcnt lgkmcnt(7)
	v_add_f32_e32 v179, v30, v34
	s_waitcnt lgkmcnt(6)
	v_add_f32_e32 v180, v31, v130
	v_and_b32_e32 v30, 8, v0
	v_cndmask_b32_e64 v34, -v200, v200, s4
	ds_bpermute_b32 v130, v2, v44
	v_cndmask_b32_e64 v4, -v4, v4, s4
	v_cndmask_b32_e64 v31, -v198, v198, s4
	v_cmp_eq_u32_e64 s19, 0, v30
	s_waitcnt lgkmcnt(6)
	v_add_f32_e32 v152, v34, v40
	ds_bpermute_b32 v34, v2, v47
	ds_bpermute_b32 v128, v2, v43
	;; [unrolled: 1-line block ×3, first 2 shown]
	v_cndmask_b32_e64 v30, -v42, v42, s19
	s_waitcnt lgkmcnt(8)
	v_add_f32_e32 v181, v32, v132
	v_cndmask_b32_e64 v32, -v199, v199, s4
	ds_bpermute_b32 v132, v2, v45
	s_waitcnt lgkmcnt(8)
	v_add_f32_e32 v174, v4, v29
	s_waitcnt lgkmcnt(7)
	v_add_f32_e32 v150, v31, v33
	;; [unrolled: 2-line block ×3, first 2 shown]
	v_cndmask_b32_e64 v30, -v44, v44, s19
	ds_bpermute_b32 v33, v2, v7
	ds_bpermute_b32 v42, v2, v6
	s_waitcnt lgkmcnt(7)
	v_add_f32_e32 v151, v32, v36
	v_cndmask_b32_e64 v29, -v43, v43, s19
	ds_bpermute_b32 v36, v2, v49
	ds_bpermute_b32 v40, v2, v50
	s_waitcnt lgkmcnt(8)
	v_add_f32_e32 v154, v30, v130
	v_cndmask_b32_e64 v30, -v47, v47, s19
	ds_bpermute_b32 v43, v2, v8
	v_cndmask_b32_e64 v31, -v45, v45, s19
	ds_bpermute_b32 v41, v2, v51
	ds_bpermute_b32 v44, v2, v52
	;; [unrolled: 1-line block ×3, first 2 shown]
	s_waitcnt lgkmcnt(11)
	v_add_f32_e32 v157, v30, v34
	ds_bpermute_b32 v34, v2, v9
	v_cndmask_b32_e64 v32, -v46, v46, s19
	v_cndmask_b32_e64 v7, -v7, v7, s19
	;; [unrolled: 1-line block ×3, first 2 shown]
	s_waitcnt lgkmcnt(11)
	v_add_f32_e32 v153, v29, v128
	s_waitcnt lgkmcnt(9)
	v_add_f32_e32 v155, v31, v132
	v_add_f32_e32 v29, v32, v134
	v_cndmask_b32_e64 v31, -v49, v49, s19
	v_cndmask_b32_e64 v32, -v50, v50, s19
	ds_bpermute_b32 v46, v2, v54
	s_waitcnt lgkmcnt(9)
	v_add_f32_e32 v156, v7, v33
	v_cndmask_b32_e64 v7, -v8, v8, s19
	s_waitcnt lgkmcnt(8)
	v_add_f32_e32 v6, v6, v42
	v_cndmask_b32_e64 v42, -v51, v51, s19
	s_waitcnt lgkmcnt(7)
	v_add_f32_e32 v158, v31, v36
	s_waitcnt lgkmcnt(6)
	v_add_f32_e32 v159, v32, v40
	v_cndmask_b32_e64 v8, -v52, v52, s19
	v_cndmask_b32_e64 v31, -v53, v53, s19
	ds_bpermute_b32 v36, v2, v56
	ds_bpermute_b32 v40, v2, v59
	s_waitcnt lgkmcnt(7)
	v_add_f32_e32 v160, v7, v43
	v_cndmask_b32_e64 v7, -v9, v9, s19
	ds_bpermute_b32 v43, v2, v10
	ds_bpermute_b32 v47, v2, v55
	s_waitcnt lgkmcnt(8)
	v_add_f32_e32 v30, v42, v41
	ds_bpermute_b32 v41, v2, v60
	s_waitcnt lgkmcnt(8)
	v_add_f32_e32 v161, v8, v44
	s_waitcnt lgkmcnt(7)
	v_add_f32_e32 v162, v31, v45
	ds_bpermute_b32 v44, v2, v62
	ds_bpermute_b32 v45, v2, v63
	s_waitcnt lgkmcnt(8)
	v_add_f32_e32 v164, v7, v34
	ds_bpermute_b32 v34, v2, v11
	v_cndmask_b32_e64 v32, -v54, v54, s19
	ds_bpermute_b32 v42, v2, v61
	v_cndmask_b32_e64 v8, -v56, v56, s19
	v_cndmask_b32_e64 v9, -v59, v59, s19
	v_cndmask_b32_e64 v7, -v10, v10, s19
	s_waitcnt lgkmcnt(9)
	v_add_f32_e32 v163, v32, v46
	ds_bpermute_b32 v46, v2, v64
	v_cndmask_b32_e64 v33, -v55, v55, s19
	v_cndmask_b32_e64 v32, -v60, v60, s19
	s_waitcnt lgkmcnt(9)
	v_add_f32_e32 v165, v8, v36
	s_waitcnt lgkmcnt(8)
	v_add_f32_e32 v166, v9, v40
	v_cndmask_b32_e64 v8, -v62, v62, s19
	v_cndmask_b32_e64 v9, -v63, v63, s19
	ds_bpermute_b32 v36, v2, v66
	ds_bpermute_b32 v40, v2, v67
	s_waitcnt lgkmcnt(9)
	v_add_f32_e32 v168, v7, v43
	v_cndmask_b32_e64 v7, -v11, v11, s19
	ds_bpermute_b32 v43, v2, v12
	s_waitcnt lgkmcnt(9)
	v_add_f32_e32 v31, v33, v47
	ds_bpermute_b32 v47, v2, v65
	s_waitcnt lgkmcnt(9)
	v_add_f32_e32 v167, v32, v41
	;; [unrolled: 3-line block ×3, first 2 shown]
	s_waitcnt lgkmcnt(8)
	v_add_f32_e32 v170, v9, v45
	v_cndmask_b32_e64 v9, -v67, v67, s19
	ds_bpermute_b32 v44, v2, v70
	s_waitcnt lgkmcnt(8)
	v_add_f32_e32 v67, v7, v34
	v_cndmask_b32_e64 v7, -v12, v12, s19
	ds_bpermute_b32 v12, v2, v13
	v_cndmask_b32_e64 v33, -v61, v61, s19
	v_cndmask_b32_e64 v10, -v64, v64, s19
	v_cndmask_b32_e64 v8, -v66, v66, s19
	v_cndmask_b32_e64 v11, -v69, v69, s19
	ds_bpermute_b32 v45, v2, v71
	s_waitcnt lgkmcnt(9)
	v_add_f32_e32 v32, v33, v42
	ds_bpermute_b32 v42, v2, v69
	s_waitcnt lgkmcnt(9)
	v_add_f32_e32 v171, v10, v46
	ds_bpermute_b32 v46, v2, v72
	v_cndmask_b32_e64 v33, -v65, v65, s19
	v_cndmask_b32_e64 v10, -v68, v68, s19
	s_waitcnt lgkmcnt(9)
	v_add_f32_e32 v68, v8, v36
	s_waitcnt lgkmcnt(8)
	v_add_f32_e32 v69, v9, v40
	v_cndmask_b32_e64 v8, -v70, v70, s19
	ds_bpermute_b32 v40, v2, v74
	s_waitcnt lgkmcnt(8)
	v_add_f32_e32 v70, v7, v43
	v_cndmask_b32_e64 v7, -v13, v13, s19
	ds_bpermute_b32 v13, v2, v14
	s_waitcnt lgkmcnt(8)
	v_add_f32_e32 v33, v33, v47
	ds_bpermute_b32 v47, v2, v73
	s_waitcnt lgkmcnt(8)
	v_add_f32_e32 v172, v10, v41
	v_cndmask_b32_e64 v9, -v71, v71, s19
	ds_bpermute_b32 v41, v2, v75
	s_waitcnt lgkmcnt(8)
	v_add_f32_e32 v71, v8, v44
	v_cndmask_b32_e64 v8, -v74, v74, s19
	ds_bpermute_b32 v43, v2, v78
	s_waitcnt lgkmcnt(8)
	v_add_f32_e32 v74, v7, v12
	ds_bpermute_b32 v12, v2, v15
	v_cndmask_b32_e64 v10, -v72, v72, s19
	ds_bpermute_b32 v49, v2, v77
	s_waitcnt lgkmcnt(8)
	v_add_f32_e32 v34, v11, v42
	v_cndmask_b32_e64 v11, -v73, v73, s19
	ds_bpermute_b32 v42, v2, v76
	s_waitcnt lgkmcnt(8)
	v_add_f32_e32 v73, v10, v46
	ds_bpermute_b32 v44, v2, v79
	ds_bpermute_b32 v46, v2, v81
	v_cndmask_b32_e64 v7, -v14, v14, s19
	ds_bpermute_b32 v14, v2, v82
	v_add_f32_e32 v72, v9, v45
	v_cndmask_b32_e64 v9, -v75, v75, s19
	ds_bpermute_b32 v45, v2, v80
	s_waitcnt lgkmcnt(11)
	v_add_f32_e32 v75, v8, v40
	v_cndmask_b32_e64 v8, -v78, v78, s19
	ds_bpermute_b32 v40, v2, v83
	s_waitcnt lgkmcnt(11)
	v_add_f32_e32 v78, v7, v13
	v_cndmask_b32_e64 v7, -v15, v15, s19
	ds_bpermute_b32 v13, v2, v16
	ds_bpermute_b32 v15, v2, v86
	s_waitcnt lgkmcnt(12)
	v_add_f32_e32 v36, v11, v47
	v_cndmask_b32_e64 v10, -v76, v76, s19
	v_cndmask_b32_e64 v11, -v77, v77, s19
	s_waitcnt lgkmcnt(11)
	v_add_f32_e32 v76, v9, v41
	v_cndmask_b32_e64 v9, -v79, v79, s19
	s_waitcnt lgkmcnt(10)
	v_add_f32_e32 v79, v8, v43
	;; [unrolled: 3-line block ×3, first 2 shown]
	ds_bpermute_b32 v12, v2, v17
	s_waitcnt lgkmcnt(9)
	v_add_f32_e32 v41, v11, v49
	v_cndmask_b32_e64 v11, -v81, v81, s19
	ds_bpermute_b32 v47, v2, v84
	ds_bpermute_b32 v49, v2, v85
	s_waitcnt lgkmcnt(10)
	v_add_f32_e32 v77, v10, v42
	v_cndmask_b32_e64 v10, -v80, v80, s19
	s_waitcnt lgkmcnt(9)
	v_add_f32_e32 v80, v9, v44
	s_waitcnt lgkmcnt(8)
	v_add_f32_e32 v42, v11, v46
	v_cndmask_b32_e64 v9, -v83, v83, s19
	ds_bpermute_b32 v44, v2, v87
	ds_bpermute_b32 v46, v2, v89
	s_waitcnt lgkmcnt(9)
	v_add_f32_e32 v83, v8, v14
	v_cndmask_b32_e64 v7, -v16, v16, s19
	v_cndmask_b32_e64 v8, -v86, v86, s19
	ds_bpermute_b32 v14, v2, v90
	s_waitcnt lgkmcnt(9)
	v_add_f32_e32 v81, v10, v45
	v_cndmask_b32_e64 v10, -v84, v84, s19
	ds_bpermute_b32 v45, v2, v88
	s_waitcnt lgkmcnt(9)
	v_add_f32_e32 v84, v9, v40
	v_cndmask_b32_e64 v9, -v87, v87, s19
	ds_bpermute_b32 v16, v2, v91
	s_waitcnt lgkmcnt(9)
	v_add_f32_e32 v86, v7, v13
	s_waitcnt lgkmcnt(8)
	v_add_f32_e32 v87, v8, v15
	v_cndmask_b32_e64 v7, -v17, v17, s19
	ds_bpermute_b32 v13, v2, v18
	ds_bpermute_b32 v15, v2, v94
	v_cndmask_b32_e64 v11, -v85, v85, s19
	ds_bpermute_b32 v40, v2, v92
	v_cndmask_b32_e64 v8, -v90, v90, s19
	ds_bpermute_b32 v17, v2, v95
	s_waitcnt lgkmcnt(11)
	v_add_f32_e32 v90, v7, v12
	ds_bpermute_b32 v12, v2, v19
	s_waitcnt lgkmcnt(11)
	v_add_f32_e32 v85, v10, v47
	s_waitcnt lgkmcnt(10)
	v_add_f32_e32 v43, v11, v49
	v_cndmask_b32_e64 v11, -v89, v89, s19
	ds_bpermute_b32 v47, v2, v93
	v_cndmask_b32_e64 v10, -v88, v88, s19
	s_waitcnt lgkmcnt(10)
	v_add_f32_e32 v88, v9, v44
	v_cndmask_b32_e64 v9, -v91, v91, s19
	s_waitcnt lgkmcnt(9)
	v_add_f32_e32 v44, v11, v46
	ds_bpermute_b32 v46, v2, v96
	ds_bpermute_b32 v49, v2, v97
	s_waitcnt lgkmcnt(10)
	v_add_f32_e32 v91, v8, v14
	v_cndmask_b32_e64 v7, -v18, v18, s19
	v_cndmask_b32_e64 v8, -v94, v94, s19
	ds_bpermute_b32 v14, v2, v98
	s_waitcnt lgkmcnt(10)
	v_add_f32_e32 v89, v10, v45
	v_cndmask_b32_e64 v10, -v92, v92, s19
	s_waitcnt lgkmcnt(9)
	v_add_f32_e32 v92, v9, v16
	v_cndmask_b32_e64 v9, -v95, v95, s19
	ds_bpermute_b32 v16, v2, v99
	ds_bpermute_b32 v18, v2, v100
	s_waitcnt lgkmcnt(10)
	v_add_f32_e32 v94, v7, v13
	s_waitcnt lgkmcnt(9)
	v_add_f32_e32 v95, v8, v15
	v_cndmask_b32_e64 v7, -v19, v19, s19
	ds_bpermute_b32 v13, v2, v20
	ds_bpermute_b32 v15, v2, v102
	v_cndmask_b32_e64 v11, -v93, v93, s19
	s_waitcnt lgkmcnt(10)
	v_add_f32_e32 v93, v10, v40
	v_cndmask_b32_e64 v10, -v96, v96, s19
	s_waitcnt lgkmcnt(9)
	v_add_f32_e32 v96, v9, v17
	v_cndmask_b32_e64 v8, -v98, v98, s19
	ds_bpermute_b32 v17, v2, v103
	s_waitcnt lgkmcnt(9)
	v_add_f32_e32 v98, v7, v12
	ds_bpermute_b32 v12, v2, v21
	s_waitcnt lgkmcnt(9)
	v_add_f32_e32 v45, v11, v47
	v_cndmask_b32_e64 v11, -v97, v97, s19
	ds_bpermute_b32 v40, v2, v101
	s_waitcnt lgkmcnt(9)
	v_add_f32_e32 v97, v10, v46
	v_cndmask_b32_e64 v9, -v99, v99, s19
	v_cndmask_b32_e64 v10, -v100, v100, s19
	s_waitcnt lgkmcnt(8)
	v_add_f32_e32 v46, v11, v49
	ds_bpermute_b32 v19, v2, v104
	ds_bpermute_b32 v49, v2, v105
	s_waitcnt lgkmcnt(9)
	v_add_f32_e32 v99, v8, v14
	v_cndmask_b32_e64 v7, -v20, v20, s19
	v_cndmask_b32_e64 v8, -v102, v102, s19
	ds_bpermute_b32 v14, v2, v106
	v_cndmask_b32_e64 v11, -v101, v101, s19
	s_waitcnt lgkmcnt(9)
	v_add_f32_e32 v100, v9, v16
	s_waitcnt lgkmcnt(8)
	v_add_f32_e32 v101, v10, v18
	v_cndmask_b32_e64 v9, -v103, v103, s19
	ds_bpermute_b32 v16, v2, v107
	ds_bpermute_b32 v18, v2, v108
	;; [unrolled: 1-line block ×3, first 2 shown]
	s_waitcnt lgkmcnt(10)
	v_add_f32_e32 v102, v7, v13
	s_waitcnt lgkmcnt(9)
	v_add_f32_e32 v103, v8, v15
	v_cndmask_b32_e64 v7, -v21, v21, s19
	ds_bpermute_b32 v13, v2, v22
	ds_bpermute_b32 v15, v2, v110
	v_cndmask_b32_e64 v10, -v104, v104, s19
	s_waitcnt lgkmcnt(10)
	v_add_f32_e32 v104, v9, v17
	v_cndmask_b32_e64 v8, -v106, v106, s19
	ds_bpermute_b32 v17, v2, v111
	s_waitcnt lgkmcnt(10)
	v_add_f32_e32 v106, v7, v12
	ds_bpermute_b32 v12, v2, v23
	s_waitcnt lgkmcnt(10)
	v_add_f32_e32 v47, v11, v40
	v_cndmask_b32_e64 v11, -v105, v105, s19
	s_waitcnt lgkmcnt(9)
	v_add_f32_e32 v105, v10, v19
	v_cndmask_b32_e64 v9, -v107, v107, s19
	v_cndmask_b32_e64 v10, -v108, v108, s19
	ds_bpermute_b32 v19, v2, v112
	s_waitcnt lgkmcnt(9)
	v_add_f32_e32 v49, v11, v49
	v_cndmask_b32_e64 v11, -v109, v109, s19
	ds_bpermute_b32 v21, v2, v113
	s_waitcnt lgkmcnt(9)
	v_add_f32_e32 v107, v8, v14
	v_cndmask_b32_e64 v7, -v22, v22, s19
	v_cndmask_b32_e64 v8, -v110, v110, s19
	ds_bpermute_b32 v14, v2, v114
	s_waitcnt lgkmcnt(9)
	v_add_f32_e32 v108, v9, v16
	s_waitcnt lgkmcnt(8)
	v_add_f32_e32 v109, v10, v18
	;; [unrolled: 2-line block ×3, first 2 shown]
	v_cndmask_b32_e64 v9, -v111, v111, s19
	ds_bpermute_b32 v16, v2, v115
	ds_bpermute_b32 v18, v2, v116
	ds_bpermute_b32 v20, v2, v117
	s_waitcnt lgkmcnt(9)
	v_add_f32_e32 v110, v7, v13
	s_waitcnt lgkmcnt(8)
	v_add_f32_e32 v111, v8, v15
	v_cndmask_b32_e64 v7, -v23, v23, s19
	ds_bpermute_b32 v13, v2, v24
	ds_bpermute_b32 v15, v2, v118
	v_cndmask_b32_e64 v10, -v112, v112, s19
	s_waitcnt lgkmcnt(9)
	v_add_f32_e32 v112, v9, v17
	v_cndmask_b32_e64 v8, -v114, v114, s19
	ds_bpermute_b32 v17, v2, v119
	s_waitcnt lgkmcnt(9)
	v_add_f32_e32 v114, v7, v12
	ds_bpermute_b32 v12, v2, v25
	v_cndmask_b32_e64 v11, -v113, v113, s19
	s_waitcnt lgkmcnt(9)
	v_add_f32_e32 v113, v10, v19
	v_cndmask_b32_e64 v9, -v115, v115, s19
	v_cndmask_b32_e64 v10, -v116, v116, s19
	ds_bpermute_b32 v19, v2, v120
	s_waitcnt lgkmcnt(9)
	v_add_f32_e32 v51, v11, v21
	v_cndmask_b32_e64 v11, -v117, v117, s19
	ds_bpermute_b32 v21, v2, v121
	s_waitcnt lgkmcnt(9)
	v_add_f32_e32 v115, v8, v14
	v_cndmask_b32_e64 v7, -v24, v24, s19
	v_cndmask_b32_e64 v8, -v118, v118, s19
	ds_bpermute_b32 v14, v2, v122
	s_waitcnt lgkmcnt(9)
	v_add_f32_e32 v116, v9, v16
	s_waitcnt lgkmcnt(8)
	v_add_f32_e32 v117, v10, v18
	;; [unrolled: 2-line block ×3, first 2 shown]
	v_cndmask_b32_e64 v9, -v119, v119, s19
	ds_bpermute_b32 v16, v2, v123
	ds_bpermute_b32 v18, v2, v124
	;; [unrolled: 1-line block ×3, first 2 shown]
	s_waitcnt lgkmcnt(9)
	v_add_f32_e32 v118, v7, v13
	s_waitcnt lgkmcnt(8)
	v_add_f32_e32 v119, v8, v15
	v_cndmask_b32_e64 v7, -v25, v25, s19
	ds_bpermute_b32 v13, v2, v26
	ds_bpermute_b32 v15, v2, v126
	v_cndmask_b32_e64 v10, -v120, v120, s19
	s_waitcnt lgkmcnt(9)
	v_add_f32_e32 v120, v9, v17
	v_cndmask_b32_e64 v8, -v122, v122, s19
	ds_bpermute_b32 v17, v2, v127
	s_waitcnt lgkmcnt(9)
	v_add_f32_e32 v122, v7, v12
	ds_bpermute_b32 v12, v2, v27
	v_cndmask_b32_e64 v11, -v121, v121, s19
	s_waitcnt lgkmcnt(9)
	v_add_f32_e32 v121, v10, v19
	v_cndmask_b32_e64 v9, -v123, v123, s19
	v_cndmask_b32_e64 v10, -v124, v124, s19
	ds_bpermute_b32 v19, v2, v129
	s_waitcnt lgkmcnt(9)
	v_add_f32_e32 v53, v11, v21
	v_cndmask_b32_e64 v11, -v125, v125, s19
	ds_bpermute_b32 v21, v2, v131
	s_waitcnt lgkmcnt(9)
	v_add_f32_e32 v123, v8, v14
	v_cndmask_b32_e64 v7, -v26, v26, s19
	v_cndmask_b32_e64 v8, -v126, v126, s19
	ds_bpermute_b32 v14, v2, v133
	s_waitcnt lgkmcnt(9)
	v_add_f32_e32 v124, v9, v16
	s_waitcnt lgkmcnt(8)
	v_add_f32_e32 v125, v10, v18
	;; [unrolled: 2-line block ×3, first 2 shown]
	v_cndmask_b32_e64 v9, -v127, v127, s19
	ds_bpermute_b32 v16, v2, v147
	ds_bpermute_b32 v18, v2, v148
	ds_bpermute_b32 v20, v2, v149
	s_waitcnt lgkmcnt(9)
	v_add_f32_e32 v126, v7, v13
	s_waitcnt lgkmcnt(8)
	v_add_f32_e32 v127, v8, v15
	v_cndmask_b32_e64 v7, -v27, v27, s19
	ds_bpermute_b32 v15, v2, v57
	v_cndmask_b32_e64 v10, -v129, v129, s19
	s_waitcnt lgkmcnt(8)
	v_add_f32_e32 v129, v9, v17
	v_cndmask_b32_e64 v8, -v133, v133, s19
	ds_bpermute_b32 v17, v2, v58
	s_waitcnt lgkmcnt(8)
	v_add_f32_e32 v133, v7, v12
	ds_bpermute_b32 v12, v2, v183
	v_cndmask_b32_e64 v11, -v131, v131, s19
	s_waitcnt lgkmcnt(8)
	v_add_f32_e32 v131, v10, v19
	v_cndmask_b32_e64 v9, -v147, v147, s19
	v_cndmask_b32_e64 v10, -v148, v148, s19
	ds_bpermute_b32 v13, v2, v28
	s_waitcnt lgkmcnt(8)
	v_add_f32_e32 v55, v11, v21
	v_cndmask_b32_e64 v11, -v149, v149, s19
	s_waitcnt lgkmcnt(7)
	v_add_f32_e32 v147, v8, v14
	v_cndmask_b32_e64 v8, -v57, v57, s19
	s_waitcnt lgkmcnt(6)
	v_add_f32_e32 v148, v9, v16
	s_waitcnt lgkmcnt(5)
	v_add_f32_e32 v149, v10, v18
	;; [unrolled: 2-line block ×3, first 2 shown]
	v_cndmask_b32_e64 v9, -v58, v58, s19
	ds_bpermute_b32 v10, v2, v3
	ds_bpermute_b32 v11, v2, v182
	s_waitcnt lgkmcnt(5)
	v_add_f32_e32 v176, v8, v15
	v_cndmask_b32_e64 v8, -v183, v183, s19
	ds_bpermute_b32 v14, v2, v5
	ds_bpermute_b32 v16, v2, v173
	s_waitcnt lgkmcnt(6)
	v_add_f32_e32 v177, v9, v17
	ds_bpermute_b32 v9, v2, v179
	s_waitcnt lgkmcnt(6)
	v_add_f32_e32 v59, v8, v12
	v_xor_b32_e32 v8, 16, v1
	v_cndmask_b32_e64 v7, -v28, v28, s19
	v_cndmask_b32_e64 v3, -v3, v3, s19
	ds_bpermute_b32 v15, v2, v181
	v_add_f32_e32 v39, v39, v137
	v_cmp_gt_i32_e64 s20, 32, v8
	s_waitcnt lgkmcnt(6)
	v_add_f32_e32 v175, v7, v13
	v_cndmask_b32_e64 v7, -v182, v182, s19
	ds_bpermute_b32 v13, v2, v180
	ds_bpermute_b32 v19, v2, v35
	v_cndmask_b32_e64 v1, v1, v8, s20
	v_cndmask_b32_e64 v5, -v5, v5, s19
	v_cndmask_b32_e64 v17, -v173, v173, s19
	s_waitcnt lgkmcnt(7)
	v_add_f32_e32 v57, v3, v10
	s_waitcnt lgkmcnt(6)
	v_add_f32_e32 v58, v7, v11
	v_cndmask_b32_e64 v3, -v179, v179, s19
	ds_bpermute_b32 v10, v2, v174
	ds_bpermute_b32 v11, v2, v150
	;; [unrolled: 1-line block ×3, first 2 shown]
	v_lshlrev_b32_e32 v63, 2, v1
	ds_bpermute_b32 v21, v2, v39
	s_waitcnt lgkmcnt(9)
	v_add_f32_e32 v60, v5, v14
	s_waitcnt lgkmcnt(8)
	v_add_f32_e32 v40, v17, v16
	ds_bpermute_b32 v2, v2, v152
	s_waitcnt lgkmcnt(8)
	v_add_f32_e32 v173, v3, v9
	ds_bpermute_b32 v9, v63, v4
	ds_bpermute_b32 v14, v63, v153
	ds_bpermute_b32 v16, v63, v155
	v_cndmask_b32_e64 v5, -v180, v180, s19
	v_cndmask_b32_e64 v7, -v181, v181, s19
	v_and_b32_e32 v8, 16, v0
	v_cndmask_b32_e64 v18, -v35, v35, s19
	v_cndmask_b32_e64 v20, -v39, v39, s19
	s_waitcnt lgkmcnt(9)
	v_add_f32_e32 v61, v5, v13
	v_add_f32_e32 v62, v7, v15
	v_cndmask_b32_e64 v3, -v174, v174, s19
	v_cndmask_b32_e64 v1, -v150, v150, s19
	;; [unrolled: 1-line block ×4, first 2 shown]
	ds_bpermute_b32 v13, v63, v6
	ds_bpermute_b32 v15, v63, v154
	v_cmp_eq_u32_e64 s19, 0, v8
	s_waitcnt lgkmcnt(10)
	v_add_f32_e32 v178, v18, v19
	s_waitcnt lgkmcnt(9)
	v_add_f32_e32 v150, v3, v10
	s_waitcnt lgkmcnt(8)
	v_add_f32_e32 v64, v1, v11
	s_waitcnt lgkmcnt(7)
	v_add_f32_e32 v65, v5, v12
	v_cndmask_b32_e64 v1, -v4, v4, s19
	v_cndmask_b32_e64 v3, -v153, v153, s19
	;; [unrolled: 1-line block ×3, first 2 shown]
	ds_bpermute_b32 v12, v63, v156
	ds_bpermute_b32 v18, v63, v158
	s_waitcnt lgkmcnt(7)
	v_add_f32_e32 v66, v7, v2
	ds_bpermute_b32 v11, v63, v29
	s_waitcnt lgkmcnt(7)
	v_add_f32_e32 v5, v1, v9
	s_waitcnt lgkmcnt(6)
	v_add_f32_e32 v7, v3, v14
	;; [unrolled: 2-line block ×3, first 2 shown]
	ds_bpermute_b32 v14, v63, v160
	ds_bpermute_b32 v16, v63, v162
	v_add_f32_e32 v39, v20, v21
	v_cndmask_b32_e64 v2, -v6, v6, s19
	v_cndmask_b32_e64 v4, -v154, v154, s19
	ds_bpermute_b32 v17, v63, v157
	ds_bpermute_b32 v19, v63, v159
	;; [unrolled: 1-line block ×3, first 2 shown]
	s_waitcnt lgkmcnt(9)
	v_add_f32_e32 v6, v2, v13
	s_waitcnt lgkmcnt(8)
	v_add_f32_e32 v8, v4, v15
	v_cndmask_b32_e64 v3, -v156, v156, s19
	v_cndmask_b32_e64 v9, -v158, v158, s19
	ds_bpermute_b32 v13, v63, v30
	ds_bpermute_b32 v15, v63, v161
	;; [unrolled: 1-line block ×3, first 2 shown]
	v_cndmask_b32_e64 v2, -v29, v29, s19
	s_waitcnt lgkmcnt(10)
	v_add_f32_e32 v3, v3, v12
	s_waitcnt lgkmcnt(9)
	v_add_f32_e32 v9, v9, v18
	v_cndmask_b32_e64 v12, -v160, v160, s19
	v_cndmask_b32_e64 v18, -v162, v162, s19
	ds_bpermute_b32 v22, v63, v164
	ds_bpermute_b32 v23, v63, v165
	;; [unrolled: 1-line block ×3, first 2 shown]
	v_cndmask_b32_e64 v4, -v157, v157, s19
	v_cndmask_b32_e64 v10, -v159, v159, s19
	s_waitcnt lgkmcnt(11)
	v_add_f32_e32 v2, v2, v11
	v_cndmask_b32_e64 v11, -v30, v30, s19
	ds_bpermute_b32 v25, v63, v167
	s_waitcnt lgkmcnt(11)
	v_add_f32_e32 v12, v12, v14
	s_waitcnt lgkmcnt(10)
	v_add_f32_e32 v14, v18, v16
	v_cndmask_b32_e64 v16, -v31, v31, s19
	ds_bpermute_b32 v26, v63, v32
	ds_bpermute_b32 v27, v63, v168
	;; [unrolled: 1-line block ×5, first 2 shown]
	s_waitcnt lgkmcnt(14)
	v_add_f32_e32 v4, v4, v17
	s_waitcnt lgkmcnt(13)
	v_add_f32_e32 v10, v10, v19
	v_cndmask_b32_e64 v17, -v161, v161, s19
	v_cndmask_b32_e64 v19, -v163, v163, s19
	s_waitcnt lgkmcnt(12)
	v_add_f32_e32 v16, v16, v21
	v_cndmask_b32_e64 v21, -v32, v32, s19
	ds_bpermute_b32 v32, v63, v33
	ds_bpermute_b32 v35, v63, v67
	;; [unrolled: 1-line block ×5, first 2 shown]
	s_waitcnt lgkmcnt(16)
	v_add_f32_e32 v11, v11, v13
	s_waitcnt lgkmcnt(15)
	v_add_f32_e32 v13, v17, v15
	;; [unrolled: 2-line block ×3, first 2 shown]
	v_cndmask_b32_e64 v17, -v164, v164, s19
	v_cndmask_b32_e64 v18, -v165, v165, s19
	;; [unrolled: 1-line block ×5, first 2 shown]
	s_waitcnt lgkmcnt(13)
	v_add_f32_e32 v17, v17, v22
	s_waitcnt lgkmcnt(12)
	v_add_f32_e32 v18, v18, v23
	;; [unrolled: 2-line block ×3, first 2 shown]
	v_cndmask_b32_e64 v22, -v168, v168, s19
	v_cndmask_b32_e64 v23, -v169, v169, s19
	;; [unrolled: 1-line block ×3, first 2 shown]
	s_waitcnt lgkmcnt(10)
	v_add_f32_e32 v20, v20, v25
	s_waitcnt lgkmcnt(9)
	v_add_f32_e32 v25, v21, v26
	;; [unrolled: 2-line block ×6, first 2 shown]
	v_cndmask_b32_e64 v22, -v33, v33, s19
	v_cndmask_b32_e64 v23, -v67, v67, s19
	v_cndmask_b32_e64 v24, -v68, v68, s19
	v_cndmask_b32_e64 v29, -v69, v69, s19
	v_cndmask_b32_e64 v30, -v172, v172, s19
	ds_bpermute_b32 v31, v63, v34
	ds_bpermute_b32 v33, v63, v70
	ds_bpermute_b32 v67, v63, v71
	ds_bpermute_b32 v68, v63, v72
	ds_bpermute_b32 v69, v63, v73
	s_waitcnt lgkmcnt(9)
	v_add_f32_e32 v22, v22, v32
	s_waitcnt lgkmcnt(8)
	v_add_f32_e32 v23, v23, v35
	s_waitcnt lgkmcnt(7)
	v_add_f32_e32 v24, v24, v128
	s_waitcnt lgkmcnt(6)
	v_add_f32_e32 v29, v29, v130
	s_waitcnt lgkmcnt(5)
	v_add_f32_e32 v30, v30, v132
	v_cndmask_b32_e64 v32, -v34, v34, s19
	v_cndmask_b32_e64 v34, -v70, v70, s19
	v_cndmask_b32_e64 v35, -v71, v71, s19
	v_cndmask_b32_e64 v70, -v72, v72, s19
	v_cndmask_b32_e64 v71, -v73, v73, s19
	ds_bpermute_b32 v72, v63, v36
	ds_bpermute_b32 v73, v63, v74
	ds_bpermute_b32 v128, v63, v75
	ds_bpermute_b32 v130, v63, v76
	ds_bpermute_b32 v132, v63, v77
	s_waitcnt lgkmcnt(9)
	v_add_f32_e32 v31, v32, v31
	s_waitcnt lgkmcnt(8)
	v_add_f32_e32 v32, v34, v33
	s_waitcnt lgkmcnt(7)
	v_add_f32_e32 v33, v35, v67
	s_waitcnt lgkmcnt(6)
	v_add_f32_e32 v34, v70, v68
	s_waitcnt lgkmcnt(5)
	v_add_f32_e32 v35, v71, v69
	v_cndmask_b32_e64 v36, -v36, v36, s19
	v_cndmask_b32_e64 v67, -v74, v74, s19
	v_cndmask_b32_e64 v68, -v75, v75, s19
	v_cndmask_b32_e64 v69, -v76, v76, s19
	v_cndmask_b32_e64 v70, -v77, v77, s19
	ds_bpermute_b32 v71, v63, v41
	ds_bpermute_b32 v74, v63, v78
	ds_bpermute_b32 v75, v63, v79
	ds_bpermute_b32 v76, v63, v80
	ds_bpermute_b32 v77, v63, v81
	s_waitcnt lgkmcnt(9)
	v_add_f32_e32 v36, v36, v72
	s_waitcnt lgkmcnt(8)
	v_add_f32_e32 v67, v67, v73
	s_waitcnt lgkmcnt(7)
	v_add_f32_e32 v68, v68, v128
	s_waitcnt lgkmcnt(6)
	v_add_f32_e32 v69, v69, v130
	s_waitcnt lgkmcnt(5)
	v_add_f32_e32 v70, v70, v132
	v_cndmask_b32_e64 v72, -v78, v78, s19
	v_cndmask_b32_e64 v73, -v79, v79, s19
	;; [unrolled: 1-line block ×4, first 2 shown]
	ds_bpermute_b32 v80, v63, v42
	ds_bpermute_b32 v81, v63, v82
	;; [unrolled: 1-line block ×5, first 2 shown]
	v_cndmask_b32_e64 v41, -v41, v41, s19
	ds_bpermute_b32 v134, v63, v88
	s_waitcnt lgkmcnt(9)
	v_add_f32_e32 v72, v72, v74
	s_waitcnt lgkmcnt(8)
	v_add_f32_e32 v73, v73, v75
	;; [unrolled: 2-line block ×3, first 2 shown]
	v_add_f32_e32 v71, v41, v71
	s_waitcnt lgkmcnt(6)
	v_add_f32_e32 v75, v79, v77
	v_cndmask_b32_e64 v41, -v42, v42, s19
	v_cndmask_b32_e64 v42, -v82, v82, s19
	;; [unrolled: 1-line block ×5, first 2 shown]
	ds_bpermute_b32 v83, v63, v43
	ds_bpermute_b32 v84, v63, v86
	;; [unrolled: 1-line block ×4, first 2 shown]
	s_waitcnt lgkmcnt(9)
	v_add_f32_e32 v76, v41, v80
	s_waitcnt lgkmcnt(8)
	v_add_f32_e32 v77, v42, v81
	;; [unrolled: 2-line block ×5, first 2 shown]
	v_cndmask_b32_e64 v41, -v43, v43, s19
	v_cndmask_b32_e64 v42, -v86, v86, s19
	;; [unrolled: 1-line block ×5, first 2 shown]
	ds_bpermute_b32 v88, v63, v44
	ds_bpermute_b32 v89, v63, v90
	;; [unrolled: 1-line block ×5, first 2 shown]
	v_cndmask_b32_e64 v44, -v44, v44, s19
	s_waitcnt lgkmcnt(8)
	v_add_f32_e32 v81, v41, v83
	s_waitcnt lgkmcnt(7)
	v_add_f32_e32 v82, v42, v84
	;; [unrolled: 2-line block ×3, first 2 shown]
	v_add_f32_e32 v42, v86, v134
	s_waitcnt lgkmcnt(5)
	v_add_f32_e32 v43, v87, v135
	v_cndmask_b32_e64 v83, -v90, v90, s19
	v_cndmask_b32_e64 v84, -v91, v91, s19
	;; [unrolled: 1-line block ×4, first 2 shown]
	ds_bpermute_b32 v87, v63, v45
	ds_bpermute_b32 v90, v63, v94
	;; [unrolled: 1-line block ×5, first 2 shown]
	s_waitcnt lgkmcnt(9)
	v_add_f32_e32 v44, v44, v88
	s_waitcnt lgkmcnt(8)
	v_add_f32_e32 v83, v83, v89
	;; [unrolled: 2-line block ×5, first 2 shown]
	v_cndmask_b32_e64 v88, -v94, v94, s19
	v_cndmask_b32_e64 v89, -v95, v95, s19
	;; [unrolled: 1-line block ×4, first 2 shown]
	ds_bpermute_b32 v96, v63, v46
	ds_bpermute_b32 v97, v63, v98
	;; [unrolled: 1-line block ×6, first 2 shown]
	v_cndmask_b32_e64 v45, -v45, v45, s19
	s_waitcnt lgkmcnt(9)
	v_add_f32_e32 v88, v88, v90
	s_waitcnt lgkmcnt(8)
	v_add_f32_e32 v89, v89, v91
	;; [unrolled: 2-line block ×4, first 2 shown]
	v_add_f32_e32 v87, v45, v87
	v_cndmask_b32_e64 v45, -v46, v46, s19
	v_cndmask_b32_e64 v46, -v98, v98, s19
	v_cndmask_b32_e64 v94, -v99, v99, s19
	v_cndmask_b32_e64 v95, -v100, v100, s19
	v_cndmask_b32_e64 v98, -v101, v101, s19
	ds_bpermute_b32 v99, v63, v47
	ds_bpermute_b32 v101, v63, v103
	;; [unrolled: 1-line block ×4, first 2 shown]
	s_waitcnt lgkmcnt(9)
	v_add_f32_e32 v92, v45, v96
	s_waitcnt lgkmcnt(8)
	v_add_f32_e32 v93, v46, v97
	;; [unrolled: 2-line block ×5, first 2 shown]
	v_cndmask_b32_e64 v95, -v104, v104, s19
	v_cndmask_b32_e64 v96, -v105, v105, s19
	ds_bpermute_b32 v104, v63, v49
	ds_bpermute_b32 v128, v63, v107
	;; [unrolled: 1-line block ×4, first 2 shown]
	v_cndmask_b32_e64 v45, -v47, v47, s19
	v_cndmask_b32_e64 v47, -v103, v103, s19
	s_waitcnt lgkmcnt(8)
	v_add_f32_e32 v103, v96, v135
	ds_bpermute_b32 v96, v63, v50
	ds_bpermute_b32 v105, v63, v106
	;; [unrolled: 1-line block ×3, first 2 shown]
	v_cndmask_b32_e64 v46, -v102, v102, s19
	s_waitcnt lgkmcnt(10)
	v_add_f32_e32 v99, v45, v99
	s_waitcnt lgkmcnt(9)
	v_add_f32_e32 v101, v47, v101
	;; [unrolled: 2-line block ×3, first 2 shown]
	v_cndmask_b32_e64 v45, -v49, v49, s19
	v_cndmask_b32_e64 v47, -v107, v107, s19
	;; [unrolled: 1-line block ×4, first 2 shown]
	ds_bpermute_b32 v134, v63, v110
	ds_bpermute_b32 v135, v63, v111
	;; [unrolled: 1-line block ×3, first 2 shown]
	s_waitcnt lgkmcnt(10)
	v_add_f32_e32 v100, v46, v100
	v_cndmask_b32_e64 v46, -v106, v106, s19
	s_waitcnt lgkmcnt(9)
	v_add_f32_e32 v104, v45, v104
	s_waitcnt lgkmcnt(8)
	v_add_f32_e32 v106, v47, v128
	;; [unrolled: 2-line block ×4, first 2 shown]
	v_cndmask_b32_e64 v45, -v50, v50, s19
	ds_bpermute_b32 v95, v63, v51
	ds_bpermute_b32 v128, v63, v114
	;; [unrolled: 1-line block ×4, first 2 shown]
	v_cndmask_b32_e64 v50, -v113, v113, s19
	s_waitcnt lgkmcnt(9)
	v_add_f32_e32 v109, v45, v96
	ds_bpermute_b32 v96, v63, v118
	s_waitcnt lgkmcnt(9)
	v_add_f32_e32 v105, v46, v105
	v_cndmask_b32_e64 v46, -v110, v110, s19
	v_cndmask_b32_e64 v47, -v111, v111, s19
	;; [unrolled: 1-line block ×3, first 2 shown]
	ds_bpermute_b32 v138, v63, v117
	s_waitcnt lgkmcnt(9)
	v_add_f32_e32 v113, v50, v137
	v_cndmask_b32_e64 v50, -v117, v117, s19
	ds_bpermute_b32 v117, v63, v119
	s_waitcnt lgkmcnt(9)
	v_add_f32_e32 v110, v46, v134
	s_waitcnt lgkmcnt(8)
	v_add_f32_e32 v111, v47, v135
	;; [unrolled: 2-line block ×3, first 2 shown]
	v_cndmask_b32_e64 v45, -v51, v51, s19
	v_cndmask_b32_e64 v46, -v114, v114, s19
	;; [unrolled: 1-line block ×4, first 2 shown]
	ds_bpermute_b32 v51, v63, v52
	ds_bpermute_b32 v134, v63, v120
	;; [unrolled: 1-line block ×3, first 2 shown]
	s_waitcnt lgkmcnt(9)
	v_add_f32_e32 v114, v45, v95
	s_waitcnt lgkmcnt(8)
	v_add_f32_e32 v115, v46, v128
	;; [unrolled: 2-line block ×4, first 2 shown]
	v_cndmask_b32_e64 v46, -v118, v118, s19
	v_cndmask_b32_e64 v47, -v119, v119, s19
	;; [unrolled: 1-line block ×4, first 2 shown]
	ds_bpermute_b32 v120, v63, v53
	ds_bpermute_b32 v121, v63, v122
	;; [unrolled: 1-line block ×3, first 2 shown]
	v_cndmask_b32_e64 v45, -v52, v52, s19
	ds_bpermute_b32 v128, v63, v123
	s_waitcnt lgkmcnt(9)
	v_add_f32_e32 v52, v46, v96
	ds_bpermute_b32 v96, v63, v54
	s_waitcnt lgkmcnt(8)
	v_add_f32_e32 v117, v47, v117
	v_cndmask_b32_e64 v47, -v123, v123, s19
	ds_bpermute_b32 v123, v63, v127
	s_waitcnt lgkmcnt(8)
	v_add_f32_e32 v51, v45, v51
	s_waitcnt lgkmcnt(7)
	v_add_f32_e32 v118, v95, v134
	v_cndmask_b32_e64 v45, -v53, v53, s19
	v_cndmask_b32_e64 v46, -v122, v122, s19
	;; [unrolled: 1-line block ×3, first 2 shown]
	ds_bpermute_b32 v122, v63, v126
	ds_bpermute_b32 v130, v63, v124
	s_waitcnt lgkmcnt(8)
	v_add_f32_e32 v119, v119, v135
	v_cndmask_b32_e64 v53, -v124, v124, s19
	ds_bpermute_b32 v124, v63, v129
	s_waitcnt lgkmcnt(8)
	v_add_f32_e32 v120, v45, v120
	s_waitcnt lgkmcnt(7)
	v_add_f32_e32 v134, v46, v121
	;; [unrolled: 2-line block ×3, first 2 shown]
	v_cndmask_b32_e64 v45, -v54, v54, s19
	ds_bpermute_b32 v95, v63, v55
	ds_bpermute_b32 v121, v63, v133
	s_waitcnt lgkmcnt(7)
	v_add_f32_e32 v135, v47, v128
	v_cndmask_b32_e64 v47, -v127, v127, s19
	s_waitcnt lgkmcnt(6)
	v_add_f32_e32 v125, v45, v96
	v_cndmask_b32_e64 v45, -v55, v55, s19
	ds_bpermute_b32 v55, v63, v56
	ds_bpermute_b32 v96, v63, v175
	v_cndmask_b32_e64 v46, -v126, v126, s19
	ds_bpermute_b32 v139, v63, v148
	s_waitcnt lgkmcnt(8)
	v_add_f32_e32 v127, v47, v123
	ds_bpermute_b32 v123, v63, v177
	ds_bpermute_b32 v132, v63, v147
	s_waitcnt lgkmcnt(9)
	v_add_f32_e32 v126, v46, v122
	v_cndmask_b32_e64 v46, -v133, v133, s19
	v_add_f32_e32 v50, v50, v138
	ds_bpermute_b32 v138, v63, v131
	s_waitcnt lgkmcnt(9)
	v_add_f32_e32 v136, v53, v130
	v_cndmask_b32_e64 v53, -v129, v129, s19
	v_cndmask_b32_e64 v54, -v131, v131, s19
	ds_bpermute_b32 v122, v63, v176
	s_waitcnt lgkmcnt(8)
	v_add_f32_e32 v130, v45, v95
	s_waitcnt lgkmcnt(7)
	v_add_f32_e32 v131, v46, v121
	v_cndmask_b32_e64 v45, -v56, v56, s19
	v_cndmask_b32_e64 v46, -v175, v175, s19
	ds_bpermute_b32 v133, v63, v39
	v_add_f32_e32 v128, v53, v124
	v_cndmask_b32_e64 v53, -v148, v148, s19
	v_cndmask_b32_e64 v95, -v177, v177, s19
	ds_bpermute_b32 v142, v63, v57
	ds_bpermute_b32 v143, v63, v58
	s_waitcnt lgkmcnt(9)
	v_add_f32_e32 v55, v45, v55
	s_waitcnt lgkmcnt(8)
	v_add_f32_e32 v56, v46, v96
	ds_bpermute_b32 v45, v63, v40
	ds_bpermute_b32 v46, v63, v173
	v_cndmask_b32_e64 v47, -v147, v147, s19
	s_waitcnt lgkmcnt(9)
	v_add_f32_e32 v53, v53, v139
	ds_bpermute_b32 v144, v63, v59
	ds_bpermute_b32 v145, v63, v60
	s_waitcnt lgkmcnt(10)
	v_add_f32_e32 v139, v95, v123
	ds_bpermute_b32 v95, v63, v61
	ds_bpermute_b32 v96, v63, v62
	s_waitcnt lgkmcnt(11)
	v_add_f32_e32 v132, v47, v132
	v_cndmask_b32_e64 v47, -v176, v176, s19
	v_cndmask_b32_e64 v39, -v39, v39, s19
	ds_bpermute_b32 v140, v63, v149
	s_waitcnt lgkmcnt(11)
	v_add_f32_e32 v129, v54, v138
	ds_bpermute_b32 v124, v63, v178
	s_waitcnt lgkmcnt(11)
	v_add_f32_e32 v138, v47, v122
	v_cndmask_b32_e64 v47, -v57, v57, s19
	v_cndmask_b32_e64 v58, -v58, v58, s19
	s_waitcnt lgkmcnt(10)
	v_add_f32_e32 v141, v39, v133
	v_cndmask_b32_e64 v39, -v40, v40, s19
	v_cndmask_b32_e64 v40, -v173, v173, s19
	;; [unrolled: 1-line block ×4, first 2 shown]
	s_waitcnt lgkmcnt(9)
	v_add_f32_e32 v57, v47, v142
	s_waitcnt lgkmcnt(8)
	v_add_f32_e32 v58, v58, v143
	;; [unrolled: 2-line block ×4, first 2 shown]
	v_cndmask_b32_e64 v39, -v61, v61, s19
	v_cndmask_b32_e64 v40, -v62, v62, s19
	v_and_b32_e32 v46, 7, v0
	v_lshrrev_b32_e32 v62, 3, v0
	s_waitcnt lgkmcnt(5)
	v_add_f32_e32 v59, v59, v144
	s_waitcnt lgkmcnt(4)
	v_add_f32_e32 v60, v60, v145
	;; [unrolled: 2-line block ×4, first 2 shown]
	v_lshrrev_b32_e32 v39, 5, v0
	v_lshl_or_b32 v40, v46, 5, v62
	v_cndmask_b32_e64 v54, -v149, v149, s19
	v_cndmask_b32_e64 v121, -v178, v178, s19
	;; [unrolled: 1-line block ×3, first 2 shown]
	v_xor_b32_e32 v0, v39, v0
	v_xor_b32_e32 v39, v40, v46
	s_waitcnt lgkmcnt(1)
	v_add_f32_e32 v54, v54, v140
	s_waitcnt lgkmcnt(0)
	v_add_f32_e32 v140, v121, v124
	ds_bpermute_b32 v121, v63, v150
	v_lshl_add_u32 v124, v0, 4, 0
	v_lshl_add_u32 v96, v39, 4, 0
	s_waitcnt lgkmcnt(0)
	s_waitcnt_vscnt null, 0x0
	s_barrier
	buffer_gl0_inv
	ds_write_b128 v124, v[5:8]
	ds_write_b128 v124, v[1:4] offset:4096
	ds_write_b128 v124, v[9:12] offset:8192
	;; [unrolled: 1-line block ×7, first 2 shown]
	s_waitcnt lgkmcnt(0)
	s_barrier
	buffer_gl0_inv
	ds_read_b128 v[147:150], v96
	ds_read_b128 v[151:154], v96 offset:4096
	ds_read_b128 v[155:158], v96 offset:8192
	;; [unrolled: 1-line block ×7, first 2 shown]
	ds_bpermute_b32 v47, v63, v64
	s_waitcnt lgkmcnt(0)
	s_barrier
	buffer_gl0_inv
	ds_write_b128 v124, v[33:36]
	ds_write_b128 v124, v[67:70] offset:4096
	ds_write_b128 v124, v[71:74] offset:8192
	;; [unrolled: 1-line block ×7, first 2 shown]
	ds_bpermute_b32 v122, v63, v65
	ds_bpermute_b32 v123, v63, v66
	v_cndmask_b32_e64 v63, -v65, v65, s19
	s_waitcnt lgkmcnt(0)
	v_add_f32_e32 v61, v45, v121
	v_cndmask_b32_e64 v45, -v64, v64, s19
	v_cndmask_b32_e64 v64, -v66, v66, s19
	ds_bpermute_b32 v35, v37, v149
	ds_bpermute_b32 v40, v37, v152
	;; [unrolled: 1-line block ×6, first 2 shown]
	s_barrier
	s_waitcnt lgkmcnt(0)
	buffer_gl0_inv
	v_add_f32_e32 v62, v45, v47
	ds_read_b128 v[65:68], v96
	ds_read_b128 v[69:72], v96 offset:4096
	ds_read_b128 v[73:76], v96 offset:8192
	;; [unrolled: 1-line block ×7, first 2 shown]
	s_waitcnt lgkmcnt(0)
	s_barrier
	buffer_gl0_inv
	ds_write_b128 v124, v[91:94]
	ds_write_b128 v124, v[97:100] offset:4096
	ds_write_b128 v124, v[101:104] offset:8192
	;; [unrolled: 1-line block ×7, first 2 shown]
	v_cndmask_b32_e64 v41, -v149, v149, s5
	v_cndmask_b32_e64 v44, -v152, v152, s5
	ds_bpermute_b32 v45, v37, v153
	ds_bpermute_b32 v46, v37, v154
	;; [unrolled: 1-line block ×5, first 2 shown]
	v_cndmask_b32_e64 v33, -v147, v147, s5
	v_add_f32_e32 v90, v41, v35
	v_add_f32_e32 v35, v44, v40
	ds_bpermute_b32 v44, v37, v159
	ds_bpermute_b32 v52, v37, v161
	v_add_f32_e32 v32, v33, v32
	v_cndmask_b32_e64 v33, -v148, v148, s5
	v_cndmask_b32_e64 v42, -v150, v150, s5
	;; [unrolled: 1-line block ×3, first 2 shown]
	s_waitcnt lgkmcnt(0)
	s_barrier
	buffer_gl0_inv
	ds_read_b128 v[114:117], v96
	ds_read_b128 v[118:121], v96 offset:4096
	ds_read_b128 v[187:190], v96 offset:8192
	;; [unrolled: 1-line block ×7, first 2 shown]
	s_waitcnt lgkmcnt(0)
	s_barrier
	buffer_gl0_inv
	ds_write_b128 v124, v[134:137]
	ds_write_b128 v124, v[125:128] offset:4096
	ds_write_b128 v124, v[129:132] offset:8192
	;; [unrolled: 1-line block ×5, first 2 shown]
	v_add_f32_e32 v89, v33, v34
	v_add_f32_e32 v33, v42, v36
	;; [unrolled: 1-line block ×3, first 2 shown]
	v_cndmask_b32_e64 v36, -v153, v153, s5
	v_cndmask_b32_e64 v39, -v154, v154, s5
	;; [unrolled: 1-line block ×5, first 2 shown]
	ds_bpermute_b32 v43, v37, v158
	ds_bpermute_b32 v51, v37, v160
	ds_bpermute_b32 v53, v37, v162
	v_add_f32_e32 v91, v36, v45
	v_add_f32_e32 v92, v39, v46
	;; [unrolled: 1-line block ×5, first 2 shown]
	v_cndmask_b32_e64 v42, -v159, v159, s5
	v_cndmask_b32_e64 v46, -v161, v161, s5
	ds_bpermute_b32 v49, v37, v163
	ds_bpermute_b32 v50, v37, v164
	;; [unrolled: 1-line block ×5, first 2 shown]
	v_add_f32_e32 v94, v42, v44
	v_add_f32_e32 v42, v46, v52
	ds_bpermute_b32 v52, v37, v168
	ds_bpermute_b32 v57, v37, v170
	;; [unrolled: 1-line block ×3, first 2 shown]
	v_cndmask_b32_e64 v41, -v158, v158, s5
	v_cndmask_b32_e64 v45, -v160, v160, s5
	;; [unrolled: 1-line block ×5, first 2 shown]
	s_waitcnt lgkmcnt(10)
	v_add_f32_e32 v93, v41, v43
	s_waitcnt lgkmcnt(9)
	v_add_f32_e32 v41, v45, v51
	;; [unrolled: 2-line block ×3, first 2 shown]
	v_cndmask_b32_e64 v45, -v164, v164, s5
	v_cndmask_b32_e64 v47, -v166, v166, s5
	;; [unrolled: 1-line block ×3, first 2 shown]
	ds_bpermute_b32 v53, v37, v169
	ds_bpermute_b32 v58, v37, v171
	v_add_f32_e32 v63, v63, v122
	v_add_f32_e32 v64, v64, v123
	ds_write_b128 v124, v[142:145] offset:24576
	ds_write_b128 v124, v[61:64] offset:28672
	s_waitcnt lgkmcnt(11)
	v_add_f32_e32 v95, v44, v49
	s_waitcnt lgkmcnt(10)
	v_add_f32_e32 v97, v45, v50
	;; [unrolled: 2-line block ×5, first 2 shown]
	v_cndmask_b32_e64 v47, -v168, v168, s5
	v_cndmask_b32_e64 v50, -v170, v170, s5
	v_cndmask_b32_e64 v54, -v172, v172, s5
	ds_bpermute_b32 v55, v37, v173
	ds_bpermute_b32 v56, v37, v174
	;; [unrolled: 1-line block ×5, first 2 shown]
	s_waitcnt lgkmcnt(11)
	v_add_f32_e32 v98, v47, v52
	s_waitcnt lgkmcnt(10)
	v_add_f32_e32 v47, v50, v57
	;; [unrolled: 2-line block ×3, first 2 shown]
	ds_bpermute_b32 v59, v37, v65
	ds_bpermute_b32 v64, v37, v67
	v_cndmask_b32_e64 v49, -v169, v169, s5
	v_cndmask_b32_e64 v51, -v171, v171, s5
	;; [unrolled: 1-line block ×5, first 2 shown]
	s_waitcnt lgkmcnt(10)
	v_add_f32_e32 v99, v49, v53
	s_waitcnt lgkmcnt(9)
	v_add_f32_e32 v49, v51, v58
	v_cndmask_b32_e64 v51, -v173, v173, s5
	v_cndmask_b32_e64 v53, -v175, v175, s5
	ds_bpermute_b32 v58, v37, v178
	ds_bpermute_b32 v63, v37, v66
	;; [unrolled: 1-line block ×3, first 2 shown]
	s_waitcnt lgkmcnt(9)
	v_add_f32_e32 v100, v51, v55
	s_waitcnt lgkmcnt(8)
	v_add_f32_e32 v101, v52, v56
	s_waitcnt lgkmcnt(7)
	v_add_f32_e32 v51, v53, v60
	s_waitcnt lgkmcnt(6)
	v_add_f32_e32 v52, v54, v61
	s_waitcnt lgkmcnt(5)
	v_add_f32_e32 v53, v57, v62
	v_cndmask_b32_e64 v55, -v65, v65, s5
	v_cndmask_b32_e64 v56, -v66, v66, s5
	;; [unrolled: 1-line block ×3, first 2 shown]
	ds_bpermute_b32 v61, v37, v69
	ds_bpermute_b32 v62, v37, v70
	;; [unrolled: 1-line block ×5, first 2 shown]
	s_waitcnt lgkmcnt(9)
	v_add_f32_e32 v103, v55, v59
	s_waitcnt lgkmcnt(8)
	v_add_f32_e32 v55, v57, v64
	v_cndmask_b32_e64 v57, -v69, v69, s5
	v_cndmask_b32_e64 v59, -v71, v71, s5
	ds_bpermute_b32 v64, v37, v74
	ds_bpermute_b32 v69, v37, v76
	;; [unrolled: 1-line block ×3, first 2 shown]
	v_cndmask_b32_e64 v54, -v178, v178, s5
	v_cndmask_b32_e64 v60, -v68, v68, s5
	ds_bpermute_b32 v68, v37, v75
	ds_bpermute_b32 v122, v37, v193
	ds_bpermute_b32 v123, v37, v194
	s_waitcnt lgkmcnt(13)
	v_add_f32_e32 v102, v54, v58
	s_waitcnt lgkmcnt(12)
	v_add_f32_e32 v54, v56, v63
	;; [unrolled: 2-line block ×3, first 2 shown]
	v_cndmask_b32_e64 v58, -v70, v70, s5
	v_cndmask_b32_e64 v60, -v72, v72, s5
	v_cndmask_b32_e64 v63, -v73, v73, s5
	ds_bpermute_b32 v70, v37, v77
	s_waitcnt lgkmcnt(11)
	v_add_f32_e32 v104, v57, v61
	s_waitcnt lgkmcnt(10)
	v_add_f32_e32 v105, v58, v62
	;; [unrolled: 2-line block ×5, first 2 shown]
	v_cndmask_b32_e64 v60, -v74, v74, s5
	v_cndmask_b32_e64 v62, -v76, v76, s5
	;; [unrolled: 1-line block ×3, first 2 shown]
	ds_bpermute_b32 v66, v37, v79
	ds_bpermute_b32 v67, v37, v80
	;; [unrolled: 1-line block ×5, first 2 shown]
	s_waitcnt lgkmcnt(11)
	v_add_f32_e32 v106, v60, v64
	s_waitcnt lgkmcnt(10)
	v_add_f32_e32 v60, v62, v69
	;; [unrolled: 2-line block ×3, first 2 shown]
	ds_bpermute_b32 v71, v37, v85
	ds_bpermute_b32 v76, v37, v87
	v_cndmask_b32_e64 v61, -v75, v75, s5
	v_cndmask_b32_e64 v63, -v77, v77, s5
	;; [unrolled: 1-line block ×5, first 2 shown]
	s_waitcnt lgkmcnt(10)
	v_add_f32_e32 v107, v61, v68
	s_waitcnt lgkmcnt(7)
	v_add_f32_e32 v61, v63, v70
	v_cndmask_b32_e64 v63, -v79, v79, s5
	v_cndmask_b32_e64 v68, -v82, v82, s5
	ds_bpermute_b32 v70, v37, v84
	ds_bpermute_b32 v75, v37, v86
	;; [unrolled: 1-line block ×3, first 2 shown]
	s_waitcnt lgkmcnt(9)
	v_add_f32_e32 v108, v63, v66
	s_waitcnt lgkmcnt(8)
	v_add_f32_e32 v109, v64, v67
	;; [unrolled: 2-line block ×5, first 2 shown]
	v_cndmask_b32_e64 v67, -v85, v85, s5
	v_cndmask_b32_e64 v69, -v87, v87, s5
	ds_bpermute_b32 v73, v37, v179
	ds_bpermute_b32 v74, v37, v180
	;; [unrolled: 1-line block ×5, first 2 shown]
	s_waitcnt lgkmcnt(9)
	v_add_f32_e32 v111, v67, v71
	s_waitcnt lgkmcnt(8)
	v_add_f32_e32 v67, v69, v76
	ds_bpermute_b32 v76, v37, v184
	ds_bpermute_b32 v81, v37, v186
	;; [unrolled: 1-line block ×3, first 2 shown]
	v_cndmask_b32_e64 v66, -v84, v84, s5
	v_cndmask_b32_e64 v68, -v86, v86, s5
	;; [unrolled: 1-line block ×5, first 2 shown]
	s_waitcnt lgkmcnt(10)
	v_add_f32_e32 v110, v66, v70
	s_waitcnt lgkmcnt(9)
	v_add_f32_e32 v66, v68, v75
	;; [unrolled: 2-line block ×3, first 2 shown]
	v_cndmask_b32_e64 v70, -v180, v180, s5
	v_cndmask_b32_e64 v72, -v182, v182, s5
	v_cndmask_b32_e64 v75, -v183, v183, s5
	ds_bpermute_b32 v77, v37, v185
	ds_bpermute_b32 v82, v37, v114
	s_waitcnt lgkmcnt(9)
	v_add_f32_e32 v112, v69, v73
	s_waitcnt lgkmcnt(8)
	v_add_f32_e32 v113, v70, v74
	s_waitcnt lgkmcnt(7)
	v_add_f32_e32 v69, v71, v78
	s_waitcnt lgkmcnt(6)
	v_add_f32_e32 v70, v72, v79
	s_waitcnt lgkmcnt(5)
	v_add_f32_e32 v71, v75, v80
	v_cndmask_b32_e64 v72, -v184, v184, s5
	v_cndmask_b32_e64 v74, -v186, v186, s5
	;; [unrolled: 1-line block ×3, first 2 shown]
	ds_bpermute_b32 v79, v37, v116
	ds_bpermute_b32 v80, v37, v117
	;; [unrolled: 1-line block ×5, first 2 shown]
	v_cndmask_b32_e64 v75, -v114, v114, s5
	s_waitcnt lgkmcnt(9)
	v_add_f32_e32 v114, v72, v76
	s_waitcnt lgkmcnt(8)
	v_add_f32_e32 v72, v74, v81
	;; [unrolled: 2-line block ×3, first 2 shown]
	ds_bpermute_b32 v83, v37, v187
	ds_bpermute_b32 v88, v37, v189
	v_cndmask_b32_e64 v73, -v185, v185, s5
	v_cndmask_b32_e64 v76, -v117, v117, s5
	;; [unrolled: 1-line block ×4, first 2 shown]
	ds_bpermute_b32 v87, v37, v188
	s_waitcnt lgkmcnt(9)
	v_add_f32_e32 v115, v73, v77
	s_waitcnt lgkmcnt(8)
	v_add_f32_e32 v73, v75, v82
	v_cndmask_b32_e64 v75, -v116, v116, s5
	v_cndmask_b32_e64 v77, -v118, v118, s5
	ds_bpermute_b32 v82, v37, v121
	ds_bpermute_b32 v120, v37, v190
	s_waitcnt lgkmcnt(8)
	v_add_f32_e32 v117, v76, v80
	v_add_f32_e32 v116, v75, v79
	s_waitcnt lgkmcnt(7)
	v_add_f32_e32 v75, v77, v84
	s_waitcnt lgkmcnt(6)
	;; [unrolled: 2-line block ×3, first 2 shown]
	v_add_f32_e32 v77, v81, v86
	v_cndmask_b32_e64 v79, -v187, v187, s5
	v_cndmask_b32_e64 v81, -v189, v189, s5
	ds_bpermute_b32 v85, v37, v191
	ds_bpermute_b32 v86, v37, v192
	ds_bpermute_b32 v125, v37, v195
	s_waitcnt lgkmcnt(7)
	v_add_f32_e32 v119, v79, v83
	s_waitcnt lgkmcnt(6)
	v_add_f32_e32 v79, v81, v88
	ds_bpermute_b32 v88, v37, v196
	ds_bpermute_b32 v126, v37, v197
	;; [unrolled: 1-line block ×4, first 2 shown]
	v_cndmask_b32_e64 v78, -v121, v121, s5
	v_cndmask_b32_e64 v80, -v188, v188, s5
	;; [unrolled: 1-line block ×3, first 2 shown]
	ds_bpermute_b32 v129, v37, v200
	ds_bpermute_b32 v138, v37, v201
	;; [unrolled: 1-line block ×3, first 2 shown]
	s_waitcnt lgkmcnt(0)
	s_barrier
	buffer_gl0_inv
	ds_read_b128 v[130:133], v96
	ds_read_b128 v[134:137], v96 offset:4096
	ds_read_b128 v[20:23], v96 offset:8192
	;; [unrolled: 1-line block ×3, first 2 shown]
	v_add_f32_e32 v118, v78, v82
	v_add_f32_e32 v78, v80, v87
	;; [unrolled: 1-line block ×3, first 2 shown]
	v_cndmask_b32_e64 v81, -v191, v191, s5
	v_cndmask_b32_e64 v82, -v192, v192, s5
	;; [unrolled: 1-line block ×5, first 2 shown]
	v_add_f32_e32 v120, v81, v85
	v_add_f32_e32 v121, v82, v86
	;; [unrolled: 1-line block ×5, first 2 shown]
	v_cndmask_b32_e64 v84, -v196, v196, s5
	v_cndmask_b32_e64 v85, -v197, v197, s5
	v_cndmask_b32_e64 v86, -v198, v198, s5
	v_cndmask_b32_e64 v87, -v199, v199, s5
	ds_bpermute_b32 v140, v37, v28
	v_cndmask_b32_e64 v125, -v200, v200, s5
	ds_bpermute_b32 v141, v37, v29
	ds_bpermute_b32 v142, v37, v30
	v_add_f32_e32 v122, v84, v88
	v_add_f32_e32 v123, v85, v126
	;; [unrolled: 1-line block ×4, first 2 shown]
	v_cndmask_b32_e64 v87, -v201, v201, s5
	v_cndmask_b32_e64 v88, -v202, v202, s5
	ds_bpermute_b32 v127, v37, v31
	ds_bpermute_b32 v128, v37, v24
	;; [unrolled: 1-line block ×5, first 2 shown]
	v_add_f32_e32 v86, v125, v129
	v_add_f32_e32 v125, v87, v138
	v_add_f32_e32 v126, v88, v139
	s_waitcnt lgkmcnt(11)
	ds_bpermute_b32 v87, v37, v130
	ds_bpermute_b32 v88, v37, v131
	;; [unrolled: 1-line block ×4, first 2 shown]
	v_cndmask_b32_e64 v28, -v28, v28, s5
	v_cndmask_b32_e64 v29, -v29, v29, s5
	;; [unrolled: 1-line block ×5, first 2 shown]
	s_waitcnt lgkmcnt(11)
	v_add_f32_e32 v28, v28, v140
	v_cndmask_b32_e64 v25, -v25, v25, s5
	v_cndmask_b32_e64 v26, -v26, v26, s5
	;; [unrolled: 1-line block ×3, first 2 shown]
	ds_bpermute_b32 v140, v37, v134
	s_waitcnt lgkmcnt(11)
	v_add_f32_e32 v29, v29, v141
	s_waitcnt lgkmcnt(10)
	v_add_f32_e32 v30, v30, v142
	;; [unrolled: 2-line block ×7, first 2 shown]
	v_cndmask_b32_e64 v27, -v130, v130, s5
	v_cndmask_b32_e64 v31, -v131, v131, s5
	;; [unrolled: 1-line block ×5, first 2 shown]
	ds_bpermute_b32 v134, v37, v135
	ds_bpermute_b32 v141, v37, v136
	;; [unrolled: 1-line block ×5, first 2 shown]
	ds_read_b128 v[16:19], v96 offset:16384
	ds_read_b128 v[8:11], v96 offset:20480
	;; [unrolled: 1-line block ×4, first 2 shown]
	s_waitcnt lgkmcnt(13)
	v_add_f32_e32 v131, v27, v87
	s_waitcnt lgkmcnt(12)
	v_add_f32_e32 v133, v31, v88
	;; [unrolled: 2-line block ×4, first 2 shown]
	v_cndmask_b32_e64 v128, -v136, v136, s5
	v_cndmask_b32_e64 v130, -v137, v137, s5
	ds_bpermute_b32 v136, v37, v22
	ds_bpermute_b32 v137, v37, v23
	s_waitcnt lgkmcnt(11)
	v_add_f32_e32 v87, v132, v140
	v_cndmask_b32_e64 v88, -v135, v135, s5
	v_cndmask_b32_e64 v132, -v20, v20, s5
	;; [unrolled: 1-line block ×3, first 2 shown]
	ds_bpermute_b32 v138, v37, v12
	v_cndmask_b32_e64 v22, -v22, v22, s5
	s_waitcnt lgkmcnt(11)
	v_add_f32_e32 v147, v88, v134
	s_waitcnt lgkmcnt(10)
	v_add_f32_e32 v148, v128, v141
	;; [unrolled: 2-line block ×5, first 2 shown]
	v_cndmask_b32_e64 v23, -v23, v23, s5
	ds_bpermute_b32 v128, v37, v15
	s_waitcnt lgkmcnt(7)
	ds_bpermute_b32 v130, v37, v16
	ds_bpermute_b32 v132, v37, v17
	;; [unrolled: 1-line block ×4, first 2 shown]
	v_cndmask_b32_e64 v12, -v12, v12, s5
	s_waitcnt lgkmcnt(7)
	v_add_f32_e32 v149, v22, v136
	s_waitcnt lgkmcnt(6)
	v_add_f32_e32 v150, v23, v137
	ds_bpermute_b32 v22, v37, v8
	ds_bpermute_b32 v23, v37, v9
	v_cndmask_b32_e64 v15, -v15, v15, s5
	v_cndmask_b32_e64 v16, -v16, v16, s5
	s_waitcnt lgkmcnt(7)
	v_add_f32_e32 v12, v12, v138
	v_cndmask_b32_e64 v17, -v17, v17, s5
	v_cndmask_b32_e64 v18, -v18, v18, s5
	;; [unrolled: 1-line block ×3, first 2 shown]
	ds_bpermute_b32 v136, v37, v10
	ds_bpermute_b32 v137, v37, v11
	;; [unrolled: 1-line block ×3, first 2 shown]
	v_cndmask_b32_e64 v8, -v8, v8, s5
	s_waitcnt lgkmcnt(9)
	v_add_f32_e32 v151, v15, v128
	s_waitcnt lgkmcnt(8)
	v_add_f32_e32 v152, v16, v130
	;; [unrolled: 2-line block ×5, first 2 shown]
	v_cndmask_b32_e64 v9, -v9, v9, s5
	ds_bpermute_b32 v19, v37, v5
	ds_bpermute_b32 v128, v37, v6
	;; [unrolled: 1-line block ×5, first 2 shown]
	s_waitcnt lgkmcnt(9)
	v_add_f32_e32 v153, v8, v22
	s_waitcnt lgkmcnt(8)
	v_add_f32_e32 v154, v9, v23
	ds_bpermute_b32 v22, v37, v2
	ds_bpermute_b32 v23, v37, v3
	v_cndmask_b32_e64 v10, -v10, v10, s5
	v_cndmask_b32_e64 v11, -v11, v11, s5
	;; [unrolled: 1-line block ×3, first 2 shown]
	ds_bpermute_b32 v139, v37, v13
	ds_bpermute_b32 v140, v37, v14
	s_waitcnt lgkmcnt(11)
	v_add_f32_e32 v4, v10, v136
	s_waitcnt lgkmcnt(10)
	v_add_f32_e32 v8, v11, v137
	;; [unrolled: 2-line block ×3, first 2 shown]
	v_cndmask_b32_e64 v5, -v5, v5, s5
	v_cndmask_b32_e64 v6, -v6, v6, s5
	;; [unrolled: 1-line block ×5, first 2 shown]
	ds_bpermute_b32 v37, v38, v32
	ds_bpermute_b32 v135, v38, v89
	;; [unrolled: 1-line block ×3, first 2 shown]
	s_waitcnt lgkmcnt(11)
	v_add_f32_e32 v7, v5, v19
	s_waitcnt lgkmcnt(10)
	v_add_f32_e32 v155, v6, v128
	;; [unrolled: 2-line block ×5, first 2 shown]
	v_cndmask_b32_e64 v2, -v2, v2, s5
	v_cndmask_b32_e64 v3, -v3, v3, s5
	;; [unrolled: 1-line block ×5, first 2 shown]
	ds_bpermute_b32 v18, v38, v33
	ds_bpermute_b32 v19, v38, v34
	;; [unrolled: 1-line block ×5, first 2 shown]
	s_waitcnt lgkmcnt(11)
	v_add_f32_e32 v156, v2, v22
	s_waitcnt lgkmcnt(10)
	v_add_f32_e32 v157, v3, v23
	v_cndmask_b32_e64 v22, -v35, v35, s18
	v_cndmask_b32_e64 v23, -v91, v91, s18
	ds_bpermute_b32 v35, v38, v39
	ds_bpermute_b32 v91, v38, v93
	s_waitcnt lgkmcnt(9)
	v_add_f32_e32 v2, v6, v37
	s_waitcnt lgkmcnt(8)
	v_add_f32_e32 v3, v10, v135
	;; [unrolled: 2-line block ×3, first 2 shown]
	v_cndmask_b32_e64 v10, -v33, v33, s18
	v_cndmask_b32_e64 v11, -v34, v34, s18
	v_cndmask_b32_e64 v33, -v92, v92, s18
	ds_bpermute_b32 v34, v38, v36
	ds_bpermute_b32 v37, v38, v40
	ds_bpermute_b32 v92, v38, v94
	s_waitcnt lgkmcnt(9)
	v_add_f32_e32 v158, v10, v18
	s_waitcnt lgkmcnt(8)
	v_add_f32_e32 v159, v11, v19
	;; [unrolled: 2-line block ×5, first 2 shown]
	v_cndmask_b32_e64 v19, -v36, v36, s18
	v_cndmask_b32_e64 v22, -v39, v39, s18
	;; [unrolled: 1-line block ×3, first 2 shown]
	ds_bpermute_b32 v36, v38, v41
	ds_bpermute_b32 v39, v38, v42
	;; [unrolled: 1-line block ×5, first 2 shown]
	v_cndmask_b32_e64 v33, -v94, v94, s18
	s_waitcnt lgkmcnt(9)
	v_add_f32_e32 v160, v22, v35
	s_waitcnt lgkmcnt(8)
	v_add_f32_e32 v22, v32, v91
	ds_bpermute_b32 v91, v38, v45
	ds_bpermute_b32 v94, v38, v98
	v_cndmask_b32_e64 v23, -v40, v40, s18
	s_waitcnt lgkmcnt(9)
	v_add_f32_e32 v40, v19, v34
	v_cndmask_b32_e64 v32, -v41, v41, s18
	v_cndmask_b32_e64 v34, -v43, v43, s18
	;; [unrolled: 1-line block ×3, first 2 shown]
	s_waitcnt lgkmcnt(8)
	v_add_f32_e32 v19, v23, v37
	s_waitcnt lgkmcnt(7)
	v_add_f32_e32 v23, v33, v92
	v_cndmask_b32_e64 v33, -v42, v42, s18
	v_cndmask_b32_e64 v37, -v97, v97, s18
	ds_bpermute_b32 v43, v38, v44
	ds_bpermute_b32 v92, v38, v46
	;; [unrolled: 1-line block ×3, first 2 shown]
	s_waitcnt lgkmcnt(9)
	v_add_f32_e32 v41, v32, v36
	s_waitcnt lgkmcnt(8)
	v_add_f32_e32 v42, v33, v39
	;; [unrolled: 2-line block ×5, first 2 shown]
	v_cndmask_b32_e64 v36, -v45, v45, s18
	v_cndmask_b32_e64 v37, -v46, v46, s18
	;; [unrolled: 1-line block ×3, first 2 shown]
	ds_bpermute_b32 v45, v38, v47
	ds_bpermute_b32 v46, v38, v49
	;; [unrolled: 1-line block ×5, first 2 shown]
	s_waitcnt lgkmcnt(9)
	v_add_f32_e32 v161, v36, v91
	s_waitcnt lgkmcnt(8)
	v_add_f32_e32 v36, v39, v94
	ds_bpermute_b32 v91, v38, v51
	ds_bpermute_b32 v94, v38, v53
	;; [unrolled: 1-line block ×3, first 2 shown]
	v_cndmask_b32_e64 v35, -v44, v44, s18
	v_cndmask_b32_e64 v44, -v99, v99, s18
	;; [unrolled: 1-line block ×5, first 2 shown]
	s_waitcnt lgkmcnt(10)
	v_add_f32_e32 v43, v35, v43
	s_waitcnt lgkmcnt(9)
	v_add_f32_e32 v35, v37, v92
	;; [unrolled: 2-line block ×3, first 2 shown]
	v_cndmask_b32_e64 v44, -v49, v49, s18
	v_cndmask_b32_e64 v49, -v100, v100, s18
	ds_bpermute_b32 v92, v38, v52
	ds_bpermute_b32 v95, v38, v102
	s_waitcnt lgkmcnt(9)
	v_add_f32_e32 v162, v39, v45
	s_waitcnt lgkmcnt(8)
	v_add_f32_e32 v163, v44, v46
	;; [unrolled: 2-line block ×5, first 2 shown]
	v_cndmask_b32_e64 v46, -v51, v51, s18
	v_cndmask_b32_e64 v47, -v52, v52, s18
	;; [unrolled: 1-line block ×4, first 2 shown]
	ds_bpermute_b32 v52, v38, v54
	ds_bpermute_b32 v53, v38, v55
	;; [unrolled: 1-line block ×4, first 2 shown]
	s_waitcnt lgkmcnt(8)
	v_add_f32_e32 v164, v46, v91
	s_waitcnt lgkmcnt(7)
	v_add_f32_e32 v46, v49, v94
	;; [unrolled: 2-line block ×3, first 2 shown]
	ds_bpermute_b32 v94, v38, v58
	ds_bpermute_b32 v97, v38, v106
	v_cndmask_b32_e64 v50, -v102, v102, s18
	ds_bpermute_b32 v90, v38, v56
	s_waitcnt lgkmcnt(8)
	v_add_f32_e32 v165, v47, v92
	v_cndmask_b32_e64 v49, -v54, v54, s18
	v_cndmask_b32_e64 v51, -v56, v56, s18
	s_waitcnt lgkmcnt(7)
	v_add_f32_e32 v47, v50, v95
	v_cndmask_b32_e64 v50, -v55, v55, s18
	v_cndmask_b32_e64 v54, -v104, v104, s18
	;; [unrolled: 1-line block ×3, first 2 shown]
	ds_bpermute_b32 v56, v38, v57
	ds_bpermute_b32 v95, v38, v59
	;; [unrolled: 1-line block ×3, first 2 shown]
	s_waitcnt lgkmcnt(9)
	v_add_f32_e32 v166, v49, v52
	s_waitcnt lgkmcnt(8)
	v_add_f32_e32 v167, v50, v53
	;; [unrolled: 2-line block ×4, first 2 shown]
	v_cndmask_b32_e64 v50, -v58, v58, s18
	v_cndmask_b32_e64 v52, -v106, v106, s18
	ds_bpermute_b32 v54, v38, v60
	ds_bpermute_b32 v55, v38, v61
	;; [unrolled: 1-line block ×5, first 2 shown]
	s_waitcnt lgkmcnt(10)
	v_add_f32_e32 v169, v50, v94
	s_waitcnt lgkmcnt(9)
	v_add_f32_e32 v58, v52, v97
	ds_bpermute_b32 v94, v38, v64
	ds_bpermute_b32 v97, v38, v110
	s_waitcnt lgkmcnt(10)
	v_add_f32_e32 v90, v51, v90
	v_cndmask_b32_e64 v49, -v57, v57, s18
	v_cndmask_b32_e64 v51, -v59, v59, s18
	;; [unrolled: 1-line block ×5, first 2 shown]
	s_waitcnt lgkmcnt(9)
	v_add_f32_e32 v168, v49, v56
	s_waitcnt lgkmcnt(8)
	v_add_f32_e32 v57, v51, v95
	;; [unrolled: 2-line block ×3, first 2 shown]
	v_cndmask_b32_e64 v49, -v60, v60, s18
	v_cndmask_b32_e64 v51, -v62, v62, s18
	ds_bpermute_b32 v56, v38, v63
	ds_bpermute_b32 v95, v38, v65
	;; [unrolled: 1-line block ×3, first 2 shown]
	v_cndmask_b32_e64 v53, -v109, v109, s18
	s_waitcnt lgkmcnt(9)
	v_add_f32_e32 v170, v49, v54
	s_waitcnt lgkmcnt(8)
	v_add_f32_e32 v171, v50, v55
	;; [unrolled: 2-line block ×4, first 2 shown]
	v_cndmask_b32_e64 v50, -v64, v64, s18
	v_cndmask_b32_e64 v52, -v110, v110, s18
	ds_bpermute_b32 v54, v38, v66
	ds_bpermute_b32 v55, v38, v67
	;; [unrolled: 1-line block ×4, first 2 shown]
	s_waitcnt lgkmcnt(9)
	v_add_f32_e32 v62, v53, v100
	ds_bpermute_b32 v100, v38, v113
	s_waitcnt lgkmcnt(9)
	v_add_f32_e32 v173, v50, v94
	s_waitcnt lgkmcnt(8)
	v_add_f32_e32 v64, v52, v97
	ds_bpermute_b32 v94, v38, v70
	ds_bpermute_b32 v97, v38, v114
	v_cndmask_b32_e64 v49, -v63, v63, s18
	v_cndmask_b32_e64 v51, -v65, v65, s18
	;; [unrolled: 1-line block ×5, first 2 shown]
	s_waitcnt lgkmcnt(9)
	v_add_f32_e32 v172, v49, v56
	s_waitcnt lgkmcnt(8)
	v_add_f32_e32 v63, v51, v95
	;; [unrolled: 2-line block ×3, first 2 shown]
	v_cndmask_b32_e64 v49, -v66, v66, s18
	v_cndmask_b32_e64 v51, -v68, v68, s18
	ds_bpermute_b32 v56, v38, v69
	ds_bpermute_b32 v95, v38, v71
	;; [unrolled: 1-line block ×3, first 2 shown]
	v_cndmask_b32_e64 v53, -v113, v113, s18
	s_waitcnt lgkmcnt(9)
	v_add_f32_e32 v112, v49, v54
	s_waitcnt lgkmcnt(8)
	v_add_f32_e32 v113, v50, v55
	;; [unrolled: 2-line block ×4, first 2 shown]
	v_cndmask_b32_e64 v50, -v70, v70, s18
	v_cndmask_b32_e64 v52, -v114, v114, s18
	ds_bpermute_b32 v54, v38, v72
	ds_bpermute_b32 v55, v38, v73
	;; [unrolled: 1-line block ×4, first 2 shown]
	s_waitcnt lgkmcnt(9)
	v_add_f32_e32 v68, v53, v100
	v_cndmask_b32_e64 v53, -v115, v115, s18
	ds_bpermute_b32 v100, v38, v117
	s_waitcnt lgkmcnt(9)
	v_add_f32_e32 v115, v50, v94
	s_waitcnt lgkmcnt(8)
	v_add_f32_e32 v70, v52, v97
	ds_bpermute_b32 v94, v38, v76
	ds_bpermute_b32 v97, v38, v118
	v_cndmask_b32_e64 v49, -v69, v69, s18
	v_cndmask_b32_e64 v51, -v71, v71, s18
	s_waitcnt lgkmcnt(7)
	v_add_f32_e32 v71, v53, v99
	v_cndmask_b32_e64 v50, -v73, v73, s18
	v_cndmask_b32_e64 v52, -v116, v116, s18
	v_add_f32_e32 v114, v49, v56
	v_add_f32_e32 v69, v51, v95
	v_cndmask_b32_e64 v49, -v72, v72, s18
	v_cndmask_b32_e64 v51, -v74, v74, s18
	ds_bpermute_b32 v56, v38, v75
	ds_bpermute_b32 v95, v38, v77
	;; [unrolled: 1-line block ×3, first 2 shown]
	v_cndmask_b32_e64 v53, -v117, v117, s18
	s_waitcnt lgkmcnt(9)
	v_add_f32_e32 v116, v49, v54
	s_waitcnt lgkmcnt(8)
	v_add_f32_e32 v117, v50, v55
	;; [unrolled: 2-line block ×4, first 2 shown]
	v_cndmask_b32_e64 v50, -v76, v76, s18
	v_cndmask_b32_e64 v52, -v118, v118, s18
	ds_bpermute_b32 v54, v38, v78
	ds_bpermute_b32 v55, v38, v79
	;; [unrolled: 1-line block ×4, first 2 shown]
	s_waitcnt lgkmcnt(9)
	v_add_f32_e32 v74, v53, v100
	v_cndmask_b32_e64 v53, -v119, v119, s18
	ds_bpermute_b32 v100, v38, v121
	s_waitcnt lgkmcnt(9)
	v_add_f32_e32 v119, v50, v94
	s_waitcnt lgkmcnt(8)
	v_add_f32_e32 v76, v52, v97
	ds_bpermute_b32 v94, v38, v82
	ds_bpermute_b32 v97, v38, v122
	v_cndmask_b32_e64 v49, -v75, v75, s18
	v_cndmask_b32_e64 v51, -v77, v77, s18
	s_waitcnt lgkmcnt(7)
	v_add_f32_e32 v77, v53, v99
	v_cndmask_b32_e64 v50, -v79, v79, s18
	v_cndmask_b32_e64 v52, -v120, v120, s18
	v_add_f32_e32 v118, v49, v56
	v_add_f32_e32 v75, v51, v95
	v_cndmask_b32_e64 v49, -v78, v78, s18
	v_cndmask_b32_e64 v51, -v80, v80, s18
	ds_bpermute_b32 v56, v38, v81
	ds_bpermute_b32 v95, v38, v83
	;; [unrolled: 1-line block ×3, first 2 shown]
	v_cndmask_b32_e64 v53, -v121, v121, s18
	s_waitcnt lgkmcnt(9)
	v_add_f32_e32 v120, v49, v54
	s_waitcnt lgkmcnt(8)
	v_add_f32_e32 v121, v50, v55
	;; [unrolled: 2-line block ×4, first 2 shown]
	v_cndmask_b32_e64 v50, -v82, v82, s18
	v_cndmask_b32_e64 v52, -v122, v122, s18
	ds_bpermute_b32 v54, v38, v84
	ds_bpermute_b32 v55, v38, v85
	;; [unrolled: 1-line block ×4, first 2 shown]
	s_waitcnt lgkmcnt(9)
	v_add_f32_e32 v80, v53, v100
	v_cndmask_b32_e64 v53, -v123, v123, s18
	s_waitcnt lgkmcnt(8)
	v_add_f32_e32 v123, v50, v94
	s_waitcnt lgkmcnt(7)
	v_add_f32_e32 v82, v52, v97
	ds_bpermute_b32 v94, v38, v29
	ds_bpermute_b32 v97, v38, v127
	v_cndmask_b32_e64 v49, -v81, v81, s18
	v_cndmask_b32_e64 v51, -v83, v83, s18
	ds_bpermute_b32 v100, v38, v126
	s_waitcnt lgkmcnt(7)
	v_add_f32_e32 v83, v53, v99
	v_cndmask_b32_e64 v50, -v85, v85, s18
	v_add_f32_e32 v122, v49, v56
	v_add_f32_e32 v81, v51, v95
	v_cndmask_b32_e64 v49, -v84, v84, s18
	v_cndmask_b32_e64 v51, -v86, v86, s18
	;; [unrolled: 1-line block ×3, first 2 shown]
	ds_bpermute_b32 v56, v38, v28
	ds_bpermute_b32 v95, v38, v30
	;; [unrolled: 1-line block ×3, first 2 shown]
	v_cndmask_b32_e64 v53, -v126, v126, s18
	s_waitcnt lgkmcnt(9)
	v_add_f32_e32 v125, v49, v54
	s_waitcnt lgkmcnt(8)
	v_add_f32_e32 v126, v50, v55
	;; [unrolled: 2-line block ×4, first 2 shown]
	v_cndmask_b32_e64 v29, -v29, v29, s18
	v_cndmask_b32_e64 v49, -v127, v127, s18
	ds_bpermute_b32 v51, v38, v24
	ds_bpermute_b32 v52, v38, v25
	;; [unrolled: 1-line block ×4, first 2 shown]
	v_cndmask_b32_e64 v50, -v129, v129, s18
	s_waitcnt lgkmcnt(9)
	v_add_f32_e32 v129, v29, v94
	s_waitcnt lgkmcnt(8)
	v_add_f32_e32 v94, v49, v97
	ds_bpermute_b32 v49, v38, v31
	ds_bpermute_b32 v101, v38, v148
	s_waitcnt lgkmcnt(9)
	v_add_f32_e32 v86, v53, v100
	v_cndmask_b32_e64 v28, -v28, v28, s18
	v_cndmask_b32_e64 v30, -v30, v30, s18
	ds_bpermute_b32 v53, v38, v26
	v_cndmask_b32_e64 v13, -v13, v13, s5
	v_cndmask_b32_e64 v24, -v24, v24, s18
	s_waitcnt lgkmcnt(9)
	v_add_f32_e32 v127, v28, v56
	s_waitcnt lgkmcnt(8)
	v_add_f32_e32 v93, v30, v95
	;; [unrolled: 2-line block ×3, first 2 shown]
	v_cndmask_b32_e64 v25, -v25, v25, s18
	v_cndmask_b32_e64 v28, -v131, v131, s18
	v_cndmask_b32_e64 v29, -v133, v133, s18
	ds_bpermute_b32 v30, v38, v27
	ds_bpermute_b32 v50, v38, v87
	ds_bpermute_b32 v56, v38, v147
	v_add_f32_e32 v13, v13, v139
	s_waitcnt lgkmcnt(9)
	v_add_f32_e32 v131, v24, v51
	s_waitcnt lgkmcnt(8)
	;; [unrolled: 2-line block ×4, first 2 shown]
	v_add_f32_e32 v99, v29, v55
	v_cndmask_b32_e64 v25, -v31, v31, s18
	v_cndmask_b32_e64 v28, -v148, v148, s18
	ds_bpermute_b32 v29, v38, v20
	ds_bpermute_b32 v31, v38, v21
	;; [unrolled: 1-line block ×4, first 2 shown]
	v_cndmask_b32_e64 v14, -v14, v14, s5
	v_cndmask_b32_e64 v26, -v26, v26, s18
	s_waitcnt lgkmcnt(9)
	v_add_f32_e32 v148, v25, v49
	s_waitcnt lgkmcnt(8)
	v_add_f32_e32 v101, v28, v101
	ds_bpermute_b32 v28, v38, v13
	ds_bpermute_b32 v49, v38, v151
	v_add_f32_e32 v14, v14, v140
	s_waitcnt lgkmcnt(9)
	v_add_f32_e32 v97, v26, v53
	v_cndmask_b32_e64 v24, -v27, v27, s18
	v_cndmask_b32_e64 v26, -v87, v87, s18
	;; [unrolled: 1-line block ×3, first 2 shown]
	ds_bpermute_b32 v53, v38, v150
	v_cndmask_b32_e64 v20, -v20, v20, s18
	s_waitcnt lgkmcnt(9)
	v_add_f32_e32 v147, v24, v30
	s_waitcnt lgkmcnt(8)
	v_add_f32_e32 v87, v26, v50
	;; [unrolled: 2-line block ×3, first 2 shown]
	v_cndmask_b32_e64 v21, -v21, v21, s18
	v_cndmask_b32_e64 v24, -v88, v88, s18
	;; [unrolled: 1-line block ×3, first 2 shown]
	ds_bpermute_b32 v27, v38, v12
	ds_bpermute_b32 v30, v38, v14
	;; [unrolled: 1-line block ×3, first 2 shown]
	v_cndmask_b32_e64 v26, -v150, v150, s18
	s_waitcnt lgkmcnt(9)
	v_add_f32_e32 v149, v20, v29
	s_waitcnt lgkmcnt(8)
	v_add_f32_e32 v150, v21, v31
	;; [unrolled: 2-line block ×4, first 2 shown]
	v_cndmask_b32_e64 v13, -v13, v13, s18
	v_cndmask_b32_e64 v20, -v151, v151, s18
	ds_bpermute_b32 v24, v38, v15
	ds_bpermute_b32 v25, v38, v16
	;; [unrolled: 1-line block ×4, first 2 shown]
	v_cndmask_b32_e64 v21, -v152, v152, s18
	s_waitcnt lgkmcnt(9)
	v_add_f32_e32 v152, v13, v28
	s_waitcnt lgkmcnt(8)
	v_add_f32_e32 v105, v20, v49
	ds_bpermute_b32 v20, v38, v8
	ds_bpermute_b32 v28, v38, v155
	s_waitcnt lgkmcnt(9)
	v_add_f32_e32 v103, v26, v53
	v_cndmask_b32_e64 v12, -v12, v12, s18
	v_cndmask_b32_e64 v14, -v14, v14, s18
	ds_bpermute_b32 v26, v38, v17
	s_waitcnt lgkmcnt(7)
	v_add_f32_e32 v106, v21, v50
	v_cndmask_b32_e64 v13, -v16, v16, s18
	v_add_f32_e32 v151, v12, v27
	v_add_f32_e32 v104, v14, v30
	v_cndmask_b32_e64 v12, -v15, v15, s18
	v_cndmask_b32_e64 v14, -v17, v17, s18
	;; [unrolled: 1-line block ×4, first 2 shown]
	ds_bpermute_b32 v17, v38, v4
	ds_bpermute_b32 v21, v38, v9
	s_waitcnt lgkmcnt(8)
	v_add_f32_e32 v153, v12, v24
	s_waitcnt lgkmcnt(7)
	v_add_f32_e32 v154, v13, v25
	;; [unrolled: 2-line block ×4, first 2 shown]
	v_cndmask_b32_e64 v8, -v8, v8, s18
	v_cndmask_b32_e64 v12, -v155, v155, s18
	ds_bpermute_b32 v13, v38, v0
	ds_bpermute_b32 v15, v38, v5
	;; [unrolled: 1-line block ×3, first 2 shown]
	s_waitcnt lgkmcnt(7)
	v_add_f32_e32 v108, v8, v20
	s_waitcnt lgkmcnt(6)
	v_add_f32_e32 v56, v12, v28
	ds_bpermute_b32 v8, v48, v2
	ds_bpermute_b32 v12, v48, v6
	;; [unrolled: 1-line block ×4, first 2 shown]
	s_waitcnt lgkmcnt(9)
	v_add_f32_e32 v50, v14, v26
	v_cndmask_b32_e64 v4, -v4, v4, s18
	v_cndmask_b32_e64 v9, -v9, v9, s18
	ds_bpermute_b32 v14, v38, v1
	ds_bpermute_b32 v24, v38, v157
	v_cndmask_b32_e64 v0, -v0, v0, s18
	s_waitcnt lgkmcnt(10)
	v_add_f32_e32 v107, v4, v17
	s_waitcnt lgkmcnt(9)
	v_add_f32_e32 v54, v9, v21
	v_cndmask_b32_e64 v4, -v5, v5, s18
	v_cndmask_b32_e64 v5, -v156, v156, s18
	ds_bpermute_b32 v9, v48, v3
	ds_bpermute_b32 v17, v48, v158
	s_waitcnt lgkmcnt(10)
	v_add_f32_e32 v110, v0, v13
	s_waitcnt lgkmcnt(9)
	v_add_f32_e32 v109, v4, v15
	;; [unrolled: 2-line block ×3, first 2 shown]
	v_cndmask_b32_e64 v0, -v2, v2, s4
	v_cndmask_b32_e64 v2, -v6, v6, s4
	;; [unrolled: 1-line block ×3, first 2 shown]
	ds_bpermute_b32 v15, v48, v11
	ds_bpermute_b32 v16, v48, v18
	;; [unrolled: 1-line block ×3, first 2 shown]
	v_cndmask_b32_e64 v7, -v7, v7, s18
	v_cndmask_b32_e64 v1, -v1, v1, s18
	s_waitcnt lgkmcnt(10)
	v_add_f32_e32 v4, v0, v8
	s_waitcnt lgkmcnt(9)
	v_add_f32_e32 v6, v2, v12
	;; [unrolled: 2-line block ×3, first 2 shown]
	ds_bpermute_b32 v12, v48, v23
	ds_bpermute_b32 v13, v48, v41
	s_waitcnt lgkmcnt(9)
	v_add_f32_e32 v55, v7, v27
	v_cndmask_b32_e64 v7, -v157, v157, s18
	s_waitcnt lgkmcnt(8)
	v_add_f32_e32 v111, v1, v14
	v_cndmask_b32_e64 v1, -v3, v3, s4
	v_cndmask_b32_e64 v3, -v158, v158, s4
	ds_bpermute_b32 v14, v48, v10
	s_waitcnt lgkmcnt(8)
	v_add_f32_e32 v52, v7, v24
	v_cndmask_b32_e64 v2, -v11, v11, s4
	s_waitcnt lgkmcnt(7)
	v_add_f32_e32 v5, v1, v9
	s_waitcnt lgkmcnt(6)
	v_add_f32_e32 v7, v3, v17
	v_cndmask_b32_e64 v1, -v10, v10, s4
	v_cndmask_b32_e64 v3, -v18, v18, s4
	;; [unrolled: 1-line block ×3, first 2 shown]
	ds_bpermute_b32 v10, v48, v19
	ds_bpermute_b32 v11, v48, v22
	;; [unrolled: 1-line block ×4, first 2 shown]
	s_waitcnt lgkmcnt(9)
	v_add_f32_e32 v2, v2, v15
	s_waitcnt lgkmcnt(8)
	v_add_f32_e32 v3, v3, v16
	;; [unrolled: 2-line block ×3, first 2 shown]
	v_cndmask_b32_e64 v15, -v22, v22, s4
	v_cndmask_b32_e64 v16, -v23, v23, s4
	;; [unrolled: 1-line block ×3, first 2 shown]
	ds_bpermute_b32 v20, v48, v32
	ds_bpermute_b32 v21, v48, v33
	;; [unrolled: 1-line block ×5, first 2 shown]
	s_waitcnt lgkmcnt(11)
	v_add_f32_e32 v16, v16, v12
	s_waitcnt lgkmcnt(10)
	v_add_f32_e32 v17, v17, v13
	v_cndmask_b32_e64 v12, -v32, v32, s4
	v_cndmask_b32_e64 v13, -v33, v33, s4
	ds_bpermute_b32 v29, v48, v35
	ds_bpermute_b32 v30, v48, v36
	;; [unrolled: 1-line block ×5, first 2 shown]
	s_waitcnt lgkmcnt(14)
	v_add_f32_e32 v1, v1, v14
	v_cndmask_b32_e64 v14, -v19, v19, s4
	v_cndmask_b32_e64 v9, -v160, v160, s4
	;; [unrolled: 1-line block ×3, first 2 shown]
	s_waitcnt lgkmcnt(12)
	v_add_f32_e32 v11, v15, v11
	v_cndmask_b32_e64 v15, -v43, v43, s4
	v_add_f32_e32 v10, v14, v10
	v_cndmask_b32_e64 v14, -v34, v34, s4
	v_cndmask_b32_e64 v28, -v161, v161, s4
	s_waitcnt lgkmcnt(11)
	v_add_f32_e32 v9, v9, v24
	s_waitcnt lgkmcnt(10)
	v_add_f32_e32 v18, v19, v18
	;; [unrolled: 2-line block ×7, first 2 shown]
	v_cndmask_b32_e64 v12, -v35, v35, s4
	v_cndmask_b32_e64 v13, -v36, v36, s4
	v_cndmask_b32_e64 v14, -v37, v37, s4
	v_cndmask_b32_e64 v15, -v162, v162, s4
	v_cndmask_b32_e64 v20, -v163, v163, s4
	ds_bpermute_b32 v21, v48, v39
	ds_bpermute_b32 v22, v48, v44
	;; [unrolled: 1-line block ×5, first 2 shown]
	s_waitcnt lgkmcnt(9)
	v_add_f32_e32 v40, v12, v29
	s_waitcnt lgkmcnt(8)
	v_add_f32_e32 v41, v13, v30
	;; [unrolled: 2-line block ×5, first 2 shown]
	ds_bpermute_b32 v29, v48, v46
	ds_bpermute_b32 v30, v48, v47
	;; [unrolled: 1-line block ×5, first 2 shown]
	v_cndmask_b32_e64 v12, -v39, v39, s4
	v_cndmask_b32_e64 v13, -v44, v44, s4
	;; [unrolled: 1-line block ×5, first 2 shown]
	s_waitcnt lgkmcnt(9)
	v_add_f32_e32 v37, v12, v21
	s_waitcnt lgkmcnt(8)
	v_add_f32_e32 v38, v13, v22
	;; [unrolled: 2-line block ×5, first 2 shown]
	v_cndmask_b32_e64 v12, -v46, v46, s4
	v_cndmask_b32_e64 v13, -v47, v47, s4
	;; [unrolled: 1-line block ×5, first 2 shown]
	ds_bpermute_b32 v21, v48, v90
	ds_bpermute_b32 v22, v48, v91
	ds_bpermute_b32 v23, v48, v92
	ds_bpermute_b32 v28, v48, v168
	ds_bpermute_b32 v34, v48, v169
	s_waitcnt lgkmcnt(9)
	v_add_f32_e32 v136, v12, v29
	s_waitcnt lgkmcnt(8)
	v_add_f32_e32 v137, v13, v30
	;; [unrolled: 2-line block ×5, first 2 shown]
	ds_bpermute_b32 v32, v48, v57
	ds_bpermute_b32 v33, v48, v58
	ds_bpermute_b32 v35, v48, v59
	ds_bpermute_b32 v44, v48, v170
	ds_bpermute_b32 v45, v48, v171
	v_cndmask_b32_e64 v15, -v90, v90, s4
	v_cndmask_b32_e64 v20, -v91, v91, s4
	;; [unrolled: 1-line block ×5, first 2 shown]
	s_waitcnt lgkmcnt(9)
	v_add_f32_e32 v15, v15, v21
	s_waitcnt lgkmcnt(8)
	v_add_f32_e32 v20, v20, v22
	;; [unrolled: 2-line block ×5, first 2 shown]
	v_cndmask_b32_e64 v28, -v57, v57, s4
	v_cndmask_b32_e64 v29, -v58, v58, s4
	;; [unrolled: 1-line block ×5, first 2 shown]
	ds_bpermute_b32 v47, v48, v60
	ds_bpermute_b32 v57, v48, v61
	;; [unrolled: 1-line block ×5, first 2 shown]
	s_waitcnt lgkmcnt(9)
	v_add_f32_e32 v32, v28, v32
	s_waitcnt lgkmcnt(8)
	v_add_f32_e32 v33, v29, v33
	;; [unrolled: 2-line block ×5, first 2 shown]
	v_cndmask_b32_e64 v29, -v60, v60, s4
	v_cndmask_b32_e64 v30, -v61, v61, s4
	;; [unrolled: 1-line block ×3, first 2 shown]
	ds_bpermute_b32 v46, v48, v63
	ds_bpermute_b32 v60, v48, v64
	;; [unrolled: 1-line block ×5, first 2 shown]
	v_cndmask_b32_e64 v44, -v172, v172, s4
	v_cndmask_b32_e64 v45, -v173, v173, s4
	s_waitcnt lgkmcnt(9)
	v_add_f32_e32 v29, v29, v47
	s_waitcnt lgkmcnt(8)
	v_add_f32_e32 v30, v30, v57
	;; [unrolled: 2-line block ×4, first 2 shown]
	v_cndmask_b32_e64 v47, -v63, v63, s4
	v_cndmask_b32_e64 v57, -v64, v64, s4
	;; [unrolled: 1-line block ×5, first 2 shown]
	ds_bpermute_b32 v64, v48, v66
	ds_bpermute_b32 v65, v48, v67
	ds_bpermute_b32 v91, v48, v114
	ds_bpermute_b32 v92, v48, v115
	s_waitcnt lgkmcnt(9)
	v_add_f32_e32 v45, v45, v89
	ds_bpermute_b32 v89, v48, v68
	s_waitcnt lgkmcnt(9)
	v_add_f32_e32 v46, v47, v46
	s_waitcnt lgkmcnt(8)
	v_add_f32_e32 v47, v57, v60
	;; [unrolled: 2-line block ×5, first 2 shown]
	v_cndmask_b32_e64 v61, -v67, v67, s4
	ds_bpermute_b32 v67, v48, v69
	ds_bpermute_b32 v90, v48, v71
	;; [unrolled: 1-line block ×3, first 2 shown]
	v_cndmask_b32_e64 v62, -v68, v68, s4
	ds_bpermute_b32 v68, v48, v70
	ds_bpermute_b32 v112, v48, v116
	v_cndmask_b32_e64 v60, -v66, v66, s4
	v_cndmask_b32_e64 v63, -v114, v114, s4
	v_cndmask_b32_e64 v66, -v115, v115, s4
	s_waitcnt lgkmcnt(8)
	v_add_f32_e32 v61, v61, v65
	v_cndmask_b32_e64 v65, -v69, v69, s4
	v_add_f32_e32 v60, v60, v64
	s_waitcnt lgkmcnt(7)
	v_add_f32_e32 v63, v63, v91
	s_waitcnt lgkmcnt(6)
	v_add_f32_e32 v64, v66, v92
	v_cndmask_b32_e64 v69, -v71, v71, s4
	v_cndmask_b32_e64 v71, -v117, v117, s4
	ds_bpermute_b32 v91, v48, v73
	ds_bpermute_b32 v92, v48, v74
	;; [unrolled: 1-line block ×4, first 2 shown]
	s_waitcnt lgkmcnt(9)
	v_add_f32_e32 v62, v62, v89
	v_cndmask_b32_e64 v66, -v70, v70, s4
	v_cndmask_b32_e64 v70, -v116, v116, s4
	ds_bpermute_b32 v89, v48, v72
	s_waitcnt lgkmcnt(9)
	v_add_f32_e32 v65, v65, v67
	s_waitcnt lgkmcnt(8)
	v_add_f32_e32 v67, v69, v90
	;; [unrolled: 2-line block ×3, first 2 shown]
	ds_bpermute_b32 v90, v48, v75
	ds_bpermute_b32 v113, v48, v77
	;; [unrolled: 1-line block ×4, first 2 shown]
	s_waitcnt lgkmcnt(10)
	v_add_f32_e32 v66, v66, v68
	s_waitcnt lgkmcnt(9)
	v_add_f32_e32 v68, v70, v112
	ds_bpermute_b32 v112, v48, v76
	v_cndmask_b32_e64 v70, -v72, v72, s4
	v_cndmask_b32_e64 v71, -v73, v73, s4
	;; [unrolled: 1-line block ×6, first 2 shown]
	s_waitcnt lgkmcnt(9)
	v_add_f32_e32 v71, v71, v91
	s_waitcnt lgkmcnt(8)
	v_add_f32_e32 v72, v72, v92
	;; [unrolled: 2-line block ×4, first 2 shown]
	v_cndmask_b32_e64 v77, -v77, v77, s4
	v_cndmask_b32_e64 v91, -v120, v120, s4
	;; [unrolled: 1-line block ×3, first 2 shown]
	ds_bpermute_b32 v114, v48, v78
	ds_bpermute_b32 v115, v48, v79
	;; [unrolled: 1-line block ×3, first 2 shown]
	s_waitcnt lgkmcnt(8)
	v_add_f32_e32 v70, v70, v89
	v_cndmask_b32_e64 v76, -v76, v76, s4
	ds_bpermute_b32 v119, v48, v122
	ds_bpermute_b32 v120, v48, v123
	s_waitcnt lgkmcnt(9)
	v_add_f32_e32 v75, v75, v90
	s_waitcnt lgkmcnt(8)
	v_add_f32_e32 v89, v77, v113
	;; [unrolled: 2-line block ×4, first 2 shown]
	v_cndmask_b32_e64 v77, -v78, v78, s4
	v_cndmask_b32_e64 v78, -v79, v79, s4
	;; [unrolled: 1-line block ×4, first 2 shown]
	ds_bpermute_b32 v113, v48, v81
	ds_bpermute_b32 v116, v48, v82
	;; [unrolled: 1-line block ×5, first 2 shown]
	s_waitcnt lgkmcnt(10)
	v_add_f32_e32 v76, v76, v112
	v_cndmask_b32_e64 v112, -v123, v123, s4
	ds_bpermute_b32 v123, v48, v86
	s_waitcnt lgkmcnt(10)
	v_add_f32_e32 v92, v77, v114
	s_waitcnt lgkmcnt(9)
	v_add_f32_e32 v77, v78, v115
	;; [unrolled: 2-line block ×3, first 2 shown]
	v_cndmask_b32_e64 v81, -v81, v81, s4
	v_cndmask_b32_e64 v82, -v82, v82, s4
	v_cndmask_b32_e64 v83, -v83, v83, s4
	v_cndmask_b32_e64 v115, -v125, v125, s4
	v_cndmask_b32_e64 v118, -v126, v126, s4
	ds_bpermute_b32 v125, v48, v127
	ds_bpermute_b32 v126, v48, v129
	s_waitcnt lgkmcnt(9)
	v_add_f32_e32 v79, v80, v119
	s_waitcnt lgkmcnt(8)
	v_add_f32_e32 v80, v112, v120
	ds_bpermute_b32 v119, v48, v84
	ds_bpermute_b32 v120, v48, v85
	s_waitcnt lgkmcnt(9)
	v_add_f32_e32 v112, v81, v113
	s_waitcnt lgkmcnt(8)
	v_add_f32_e32 v113, v82, v116
	;; [unrolled: 2-line block ×5, first 2 shown]
	v_cndmask_b32_e64 v82, -v84, v84, s4
	v_cndmask_b32_e64 v83, -v85, v85, s4
	;; [unrolled: 1-line block ×4, first 2 shown]
	ds_bpermute_b32 v118, v48, v93
	ds_bpermute_b32 v121, v48, v94
	;; [unrolled: 1-line block ×5, first 2 shown]
	v_cndmask_b32_e64 v86, -v129, v129, s4
	s_waitcnt lgkmcnt(9)
	v_add_f32_e32 v84, v84, v123
	ds_bpermute_b32 v123, v48, v97
	ds_bpermute_b32 v129, v48, v147
	;; [unrolled: 1-line block ×4, first 2 shown]
	s_waitcnt lgkmcnt(12)
	v_add_f32_e32 v116, v85, v125
	s_waitcnt lgkmcnt(11)
	v_add_f32_e32 v117, v86, v126
	v_cndmask_b32_e64 v85, -v93, v93, s4
	v_cndmask_b32_e64 v86, -v94, v94, s4
	;; [unrolled: 1-line block ×5, first 2 shown]
	ds_bpermute_b32 v125, v48, v98
	s_waitcnt lgkmcnt(11)
	v_add_f32_e32 v82, v82, v119
	s_waitcnt lgkmcnt(10)
	v_add_f32_e32 v83, v83, v120
	ds_bpermute_b32 v126, v48, v99
	s_waitcnt lgkmcnt(10)
	v_add_f32_e32 v118, v85, v118
	s_waitcnt lgkmcnt(9)
	v_add_f32_e32 v119, v86, v121
	;; [unrolled: 2-line block ×5, first 2 shown]
	v_cndmask_b32_e64 v85, -v97, v97, s4
	v_cndmask_b32_e64 v86, -v98, v98, s4
	;; [unrolled: 1-line block ×5, first 2 shown]
	ds_bpermute_b32 v97, v48, v87
	ds_bpermute_b32 v98, v48, v100
	;; [unrolled: 1-line block ×4, first 2 shown]
	s_waitcnt lgkmcnt(9)
	v_add_f32_e32 v123, v85, v123
	s_waitcnt lgkmcnt(8)
	v_add_f32_e32 v127, v94, v129
	;; [unrolled: 2-line block ×3, first 2 shown]
	v_cndmask_b32_e64 v85, -v87, v87, s4
	v_cndmask_b32_e64 v87, -v101, v101, s4
	;; [unrolled: 1-line block ×3, first 2 shown]
	ds_bpermute_b32 v95, v48, v88
	ds_bpermute_b32 v101, v48, v102
	;; [unrolled: 1-line block ×5, first 2 shown]
	s_waitcnt lgkmcnt(11)
	v_add_f32_e32 v129, v94, v132
	ds_bpermute_b32 v94, v48, v104
	ds_bpermute_b32 v141, v48, v106
	;; [unrolled: 1-line block ×3, first 2 shown]
	s_waitcnt lgkmcnt(13)
	v_add_f32_e32 v125, v86, v125
	v_cndmask_b32_e64 v86, -v100, v100, s4
	s_waitcnt lgkmcnt(12)
	v_add_f32_e32 v126, v93, v126
	v_cndmask_b32_e64 v93, -v149, v149, s4
	s_waitcnt lgkmcnt(11)
	v_add_f32_e32 v97, v85, v97
	s_waitcnt lgkmcnt(9)
	v_add_f32_e32 v99, v87, v99
	v_add_f32_e32 v98, v86, v98
	v_cndmask_b32_e64 v85, -v88, v88, s4
	v_cndmask_b32_e64 v86, -v102, v102, s4
	;; [unrolled: 1-line block ×4, first 2 shown]
	s_waitcnt lgkmcnt(8)
	v_add_f32_e32 v100, v93, v131
	v_cndmask_b32_e64 v93, -v152, v152, s4
	ds_bpermute_b32 v140, v48, v105
	ds_bpermute_b32 v143, v48, v154
	s_waitcnt lgkmcnt(9)
	v_add_f32_e32 v130, v85, v95
	s_waitcnt lgkmcnt(8)
	v_add_f32_e32 v131, v86, v101
	;; [unrolled: 2-line block ×4, first 2 shown]
	v_cndmask_b32_e64 v85, -v104, v104, s4
	v_cndmask_b32_e64 v87, -v106, v106, s4
	;; [unrolled: 1-line block ×3, first 2 shown]
	ds_bpermute_b32 v95, v48, v50
	ds_bpermute_b32 v106, v48, v53
	s_waitcnt lgkmcnt(7)
	v_add_f32_e32 v102, v93, v139
	ds_bpermute_b32 v144, v48, v108
	s_waitcnt lgkmcnt(7)
	v_add_f32_e32 v103, v85, v94
	s_waitcnt lgkmcnt(6)
	v_add_f32_e32 v138, v87, v141
	;; [unrolled: 2-line block ×3, first 2 shown]
	ds_bpermute_b32 v85, v48, v54
	ds_bpermute_b32 v87, v48, v56
	;; [unrolled: 1-line block ×3, first 2 shown]
	v_cndmask_b32_e64 v86, -v105, v105, s4
	v_cndmask_b32_e64 v93, -v154, v154, s4
	ds_bpermute_b32 v105, v48, v51
	v_cndmask_b32_e64 v50, -v50, v50, s4
	v_cndmask_b32_e64 v53, -v53, v53, s4
	ds_bpermute_b32 v133, v48, v107
	s_waitcnt lgkmcnt(9)
	v_add_f32_e32 v104, v86, v140
	s_waitcnt lgkmcnt(8)
	v_add_f32_e32 v140, v93, v143
	ds_bpermute_b32 v86, v48, v55
	ds_bpermute_b32 v93, v48, v111
	v_cndmask_b32_e64 v108, -v108, v108, s4
	s_waitcnt lgkmcnt(9)
	v_add_f32_e32 v141, v50, v95
	s_waitcnt lgkmcnt(8)
	v_add_f32_e32 v106, v53, v106
	v_cndmask_b32_e64 v50, -v54, v54, s4
	v_cndmask_b32_e64 v53, -v56, v56, s4
	;; [unrolled: 1-line block ×3, first 2 shown]
	s_waitcnt lgkmcnt(7)
	v_add_f32_e32 v108, v108, v144
	v_cndmask_b32_e64 v51, -v51, v51, s4
	s_waitcnt lgkmcnt(6)
	v_add_f32_e32 v142, v50, v85
	s_waitcnt lgkmcnt(5)
	v_add_f32_e32 v144, v53, v87
	;; [unrolled: 2-line block ×3, first 2 shown]
	ds_bpermute_b32 v50, v48, v109
	ds_bpermute_b32 v53, v48, v49
	;; [unrolled: 1-line block ×3, first 2 shown]
	v_cndmask_b32_e64 v94, -v107, v107, s4
	s_waitcnt lgkmcnt(6)
	v_add_f32_e32 v105, v51, v105
	v_cndmask_b32_e64 v51, -v55, v55, s4
	v_cndmask_b32_e64 v55, -v111, v111, s4
	;; [unrolled: 1-line block ×3, first 2 shown]
	s_waitcnt lgkmcnt(5)
	v_add_f32_e32 v107, v94, v133
	s_waitcnt lgkmcnt(0)
	v_add_f32_e32 v143, v51, v86
	v_cndmask_b32_e64 v51, -v109, v109, s4
	v_add_f32_e32 v133, v55, v93
	v_cndmask_b32_e64 v55, -v49, v49, s4
	s_barrier
	buffer_gl0_inv
	ds_write_b128 v96, v[4:7]
	ds_write_b128 v96, v[0:3] offset:4096
	ds_write_b128 v96, v[8:11] offset:8192
	;; [unrolled: 1-line block ×7, first 2 shown]
	s_waitcnt lgkmcnt(0)
	s_barrier
	buffer_gl0_inv
	ds_read_b128 v[0:3], v124
	ds_read_b128 v[4:7], v124 offset:8192
	ds_read_b128 v[8:11], v124 offset:16384
	;; [unrolled: 1-line block ×3, first 2 shown]
	v_add_f32_e32 v134, v51, v50
	ds_read_b128 v[36:39], v124 offset:4096
	ds_read_b128 v[48:51], v124 offset:12288
	;; [unrolled: 1-line block ×4, first 2 shown]
	v_add_f32_e32 v135, v55, v53
	v_add_f32_e32 v136, v52, v54
	s_waitcnt lgkmcnt(0)
	s_barrier
	buffer_gl0_inv
	ds_write_b128 v96, v[12:15]
	ds_write_b128 v96, v[20:23] offset:4096
	ds_write_b128 v96, v[32:35] offset:8192
	;; [unrolled: 1-line block ×7, first 2 shown]
	s_waitcnt lgkmcnt(0)
	s_barrier
	buffer_gl0_inv
	ds_read_b128 v[56:59], v124
	ds_read_b128 v[32:35], v124 offset:4096
	ds_read_b128 v[60:63], v124 offset:8192
	ds_read_b128 v[52:55], v124 offset:12288
	ds_read_b128 v[28:31], v124 offset:16384
	ds_read_b128 v[12:15], v124 offset:20480
	ds_read_b128 v[44:47], v124 offset:24576
	ds_read_b128 v[20:23], v124 offset:28672
	s_waitcnt lgkmcnt(0)
	s_barrier
	buffer_gl0_inv
	ds_write_b128 v96, v[69:72]
	ds_write_b128 v96, v[73:76] offset:4096
	ds_write_b128 v96, v[89:92] offset:8192
	;; [unrolled: 1-line block ×7, first 2 shown]
	s_waitcnt lgkmcnt(0)
	v_add_f32_e32 v192, v0, v4
	v_add_f32_e32 v193, v1, v5
	;; [unrolled: 1-line block ×6, first 2 shown]
	s_barrier
	v_add_f32_e32 v160, v192, v194
	v_add_f32_e32 v161, v193, v195
	;; [unrolled: 1-line block ×4, first 2 shown]
	buffer_gl0_inv
	ds_read_b128 v[88:91], v124
	ds_read_b128 v[76:79], v124 offset:4096
	ds_read_b128 v[92:95], v124 offset:8192
	;; [unrolled: 1-line block ×7, first 2 shown]
	v_add_f32_e32 v223, v28, v44
	v_add_f32_e32 v224, v29, v45
	s_waitcnt lgkmcnt(0)
	s_barrier
	buffer_gl0_inv
	v_add_f32_e32 v168, v215, v223
	ds_write_b128 v96, v[125:128]
	ds_write_b128 v96, v[97:100] offset:4096
	ds_write_b128 v96, v[129:132] offset:8192
	;; [unrolled: 1-line block ×7, first 2 shown]
	v_add_f32_e32 v217, v58, v62
	v_add_f32_e32 v225, v30, v46
	;; [unrolled: 1-line block ×7, first 2 shown]
	s_waitcnt lgkmcnt(0)
	s_barrier
	buffer_gl0_inv
	ds_read_b128 v[96:99], v124 offset:8192
	ds_read_b128 v[104:107], v124
	v_add_f32_e32 v218, v59, v63
	v_add_f32_e32 v226, v31, v47
	ds_read_b128 v[100:103], v124 offset:4096
	ds_read_b128 v[108:111], v124 offset:12288
	;; [unrolled: 1-line block ×6, first 2 shown]
	v_add_f32_e32 v170, v217, v225
	buffer_store_dword v128, off, s[36:39], 0 offset:88 ; 4-byte Folded Spill
	v_add_f32_e32 v128, v161, v169
	v_add_f32_e32 v200, v36, v48
	v_add_f32_e32 v202, v24, v40
	v_add_f32_e32 v163, v198, v199
	v_add_f32_e32 v219, v32, v52
	v_add_f32_e32 v227, v12, v20
	v_add_f32_e32 v171, v218, v226
	buffer_store_dword v128, off, s[36:39], 0 offset:92 ; 4-byte Folded Spill
	v_add_f32_e32 v128, v162, v170
	v_add_f32_e32 v201, v37, v49
	v_add_f32_e32 v203, v25, v41
	v_add_f32_e32 v164, v200, v202
	v_add_f32_e32 v220, v33, v53
	v_add_f32_e32 v228, v13, v21
	;; [unrolled: 8-line block ×4, first 2 shown]
	v_add_f32_e32 v174, v221, v229
	buffer_store_dword v128, off, s[36:39], 0 offset:104 ; 4-byte Folded Spill
	v_add_f32_e32 v128, v165, v173
	v_add_f32_e32 v167, v205, v207
	;; [unrolled: 1-line block ×4, first 2 shown]
	s_waitcnt lgkmcnt(6)
	v_add_f32_e32 v247, v104, v96
	s_waitcnt lgkmcnt(2)
	v_add_f32_e32 v255, v120, v116
	v_add_f32_e32 v175, v222, v230
	buffer_store_dword v128, off, s[36:39], 0 offset:76 ; 4-byte Folded Spill
	v_add_f32_e32 v128, v166, v174
	v_add_f32_e32 v232, v89, v93
	v_add_f32_e32 v240, v73, v81
	v_add_f32_e32 v248, v105, v97
	v_add_f32_e32 v134, v121, v117
	v_add_f32_e32 v176, v231, v239
	v_add_f32_e32 v184, v247, v255
	buffer_store_dword v128, off, s[36:39], 0 offset:80 ; 4-byte Folded Spill
	v_add_f32_e32 v128, v167, v175
	v_add_f32_e32 v233, v90, v94
	v_add_f32_e32 v241, v74, v82
	v_add_f32_e32 v249, v106, v98
	v_add_f32_e32 v135, v122, v118
	;; [unrolled: 8-line block ×3, first 2 shown]
	v_add_f32_e32 v178, v233, v241
	v_add_f32_e32 v186, v249, v135
	buffer_store_dword v128, off, s[36:39], 0 offset:116 ; 4-byte Folded Spill
	v_add_f32_e32 v128, v177, v185
	v_add_f32_e32 v235, v76, v84
	;; [unrolled: 1-line block ×4, first 2 shown]
	s_waitcnt lgkmcnt(0)
	v_add_f32_e32 v137, v112, v124
	v_add_f32_e32 v179, v234, v242
	v_add_f32_e32 v187, v250, v136
	buffer_store_dword v128, off, s[36:39], 0 offset:120 ; 4-byte Folded Spill
	v_add_f32_e32 v128, v178, v186
	v_add_f32_e32 v236, v77, v85
	v_add_f32_e32 v244, v65, v69
	v_add_f32_e32 v252, v101, v109
	v_add_f32_e32 v138, v113, v125
	v_add_f32_e32 v180, v235, v243
	v_add_f32_e32 v188, v251, v137
	buffer_store_dword v128, off, s[36:39], 0 offset:124 ; 4-byte Folded Spill
	v_add_f32_e32 v128, v179, v187
	v_add_f32_e32 v237, v78, v86
	v_add_f32_e32 v245, v66, v70
	v_add_f32_e32 v253, v102, v110
	;; [unrolled: 8-line block ×3, first 2 shown]
	v_add_f32_e32 v140, v115, v127
	v_add_f32_e32 v182, v237, v245
	;; [unrolled: 1-line block ×3, first 2 shown]
	buffer_store_dword v128, off, s[36:39], 0 offset:132 ; 4-byte Folded Spill
	v_add_f32_e32 v128, v181, v189
	s_mul_i32 s5, s26, s28
	s_mul_hi_u32 s18, s26, s6
	v_add_f32_e32 v183, v238, v246
	v_add_f32_e32 v191, v254, v140
	buffer_store_dword v128, off, s[36:39], 0 offset:108 ; 4-byte Folded Spill
	v_add_f32_e32 v128, v182, v190
	s_add_i32 s5, s18, s5
	s_mul_i32 s18, s27, s6
	s_mul_i32 s4, s26, s6
	s_add_i32 s5, s5, s18
	buffer_store_dword v128, off, s[36:39], 0 offset:112 ; 4-byte Folded Spill
	s_lshl_b64 s[4:5], s[4:5], 1
	v_add_f32_e32 v128, v183, v191
	s_add_u32 s18, s22, s4
	s_addc_u32 s19, s23, s5
	buffer_store_dword v128, off, s[36:39], 0 offset:84 ; 4-byte Folded Spill
	s_and_saveexec_b32 s5, s16
	s_cbranch_execz .LBB38_34
; %bb.33:
	v_add_f32_e32 v128, v167, v175
	v_add_f32_e32 v129, v183, v191
	;; [unrolled: 1-line block ×11, first 2 shown]
	v_mul_f32_e32 v128, s21, v128
	v_add_f32_e32 v129, v129, v130
	v_add_f32_e32 v130, v165, v173
	v_or_b32_e32 v145, 0x400000, v128
	v_mul_f32_e32 v129, s21, v129
	v_add_f32_e32 v130, v130, v131
	v_add_f32_e32 v131, v164, v172
	v_cmp_u_f32_e64 s4, v128, v128
	v_bfe_u32 v144, v129, 16, 1
	v_mul_f32_e32 v130, s21, v130
	v_add_f32_e32 v131, v131, v132
	v_add_f32_e32 v132, v163, v171
	v_or_b32_e32 v147, 0x400000, v129
	v_add3_u32 v144, v144, v129, 0x7fff
	v_bfe_u32 v148, v130, 16, 1
	v_mul_f32_e32 v131, s21, v131
	v_add_f32_e32 v132, v132, v133
	v_add_f32_e32 v133, v162, v170
	v_mul_f32_e32 v132, s21, v132
	v_add_f32_e32 v133, v133, v141
	v_add_f32_e32 v141, v161, v169
	v_or_b32_e32 v149, 0x400000, v132
	v_mul_f32_e32 v133, s21, v133
	v_add_f32_e32 v141, v141, v142
	v_add_f32_e32 v142, v160, v168
	v_or_b32_e32 v151, 0x400000, v133
	v_mul_f32_e32 v141, s21, v141
	v_add_f32_e32 v142, v142, v143
	v_bfe_u32 v143, v128, 16, 1
	v_or_b32_e32 v152, 0x400000, v141
	v_mul_f32_e32 v142, s21, v142
	v_add3_u32 v143, v143, v128, 0x7fff
	v_bfe_u32 v150, v142, 16, 1
	v_cndmask_b32_e64 v128, v143, v145, s4
	v_cmp_u_f32_e64 s4, v129, v129
	v_bfe_u32 v143, v131, 16, 1
	v_add3_u32 v145, v148, v130, 0x7fff
	v_or_b32_e32 v148, 0x400000, v130
	v_add3_u32 v150, v150, v142, 0x7fff
	v_cndmask_b32_e64 v129, v144, v147, s4
	v_cmp_u_f32_e64 s4, v130, v130
	v_add3_u32 v143, v143, v131, 0x7fff
	v_or_b32_e32 v144, 0x400000, v131
	v_bfe_u32 v147, v132, 16, 1
	v_or_b32_e32 v153, 0x400000, v142
	v_cndmask_b32_e64 v130, v145, v148, s4
	v_cmp_u_f32_e64 s4, v131, v131
	v_bfe_u32 v145, v133, 16, 1
	v_add3_u32 v147, v147, v132, 0x7fff
	v_bfe_u32 v148, v141, 16, 1
	v_perm_b32 v131, v128, v129, 0x7060302
	v_cndmask_b32_e64 v143, v143, v144, s4
	v_cmp_u_f32_e64 s4, v132, v132
	v_add3_u32 v145, v145, v133, 0x7fff
	v_add3_u32 v148, v148, v141, 0x7fff
	v_perm_b32 v130, v130, v143, 0x7060302
	v_cndmask_b32_e64 v132, v147, v149, s4
	v_cmp_u_f32_e64 s4, v133, v133
	v_cndmask_b32_e64 v133, v145, v151, s4
	v_cmp_u_f32_e64 s4, v141, v141
	v_perm_b32 v129, v132, v133, 0x7060302
	v_cndmask_b32_e64 v141, v148, v152, s4
	v_cmp_u_f32_e64 s4, v142, v142
	v_cndmask_b32_e64 v142, v150, v153, s4
	v_perm_b32 v128, v141, v142, 0x7060302
	global_store_dwordx4 v146, v[128:131], s[18:19]
.LBB38_34:
	s_or_b32 exec_lo, exec_lo, s5
	v_sub_f32_e32 v39, v39, v51
	v_sub_f32_e32 v43, v27, v43
	;; [unrolled: 1-line block ×19, first 2 shown]
	v_add_f32_e32 v214, v39, v43
	v_sub_f32_e32 v48, v57, v61
	v_sub_f32_e32 v49, v56, v60
	;; [unrolled: 1-line block ×45, first 2 shown]
	v_add_f32_e32 v76, v35, v54
	v_add_f32_e32 v146, v142, v143
	;; [unrolled: 1-line block ×39, first 2 shown]
	buffer_store_dword v3, off, s[36:39], 0 offset:136 ; 4-byte Folded Spill
	v_add_f32_e32 v11, v77, v85
	v_add_f32_e32 v12, v78, v86
	;; [unrolled: 1-line block ×8, first 2 shown]
	s_and_saveexec_b32 s5, s15
	s_cbranch_execz .LBB38_36
; %bb.35:
	v_add_f32_e32 v16, v4, v11
	v_add_f32_e32 v18, v6, v13
	;; [unrolled: 1-line block ×5, first 2 shown]
	v_mul_f32_e32 v16, s21, v16
	v_mul_f32_e32 v18, s21, v18
	;; [unrolled: 1-line block ×3, first 2 shown]
	v_add_f32_e32 v22, v2, v10
	v_add_f32_e32 v23, v214, v76
	v_bfe_u32 v24, v16, 16, 1
	v_or_b32_e32 v26, 0x400000, v16
	v_bfe_u32 v27, v18, 16, 1
	v_cmp_u_f32_e64 s4, v16, v16
	v_bfe_u32 v28, v19, 16, 1
	v_add3_u32 v24, v24, v16, 0x7fff
	v_mul_f32_e32 v20, s21, v20
	v_add_f32_e32 v23, v23, v3
	v_or_b32_e32 v29, 0x400000, v19
	v_add3_u32 v28, v28, v19, 0x7fff
	v_cndmask_b32_e64 v16, v24, v26, s4
	v_add3_u32 v26, v27, v18, 0x7fff
	v_or_b32_e32 v27, 0x400000, v18
	v_cmp_u_f32_e64 s4, v18, v18
	v_bfe_u32 v18, v20, 16, 1
	v_add_f32_e32 v17, v5, v12
	v_cndmask_b32_e64 v26, v26, v27, s4
	v_cmp_u_f32_e64 s4, v19, v19
	v_mul_f32_e32 v19, s21, v21
	v_mul_f32_e32 v21, s21, v22
	;; [unrolled: 1-line block ×3, first 2 shown]
	v_add3_u32 v18, v18, v20, 0x7fff
	v_cndmask_b32_e64 v27, v28, v29, s4
	v_or_b32_e32 v23, 0x400000, v20
	v_bfe_u32 v28, v19, 16, 1
	v_bfe_u32 v29, v21, 16, 1
	v_cmp_u_f32_e64 s4, v20, v20
	v_bfe_u32 v30, v22, 16, 1
	v_or_b32_e32 v31, 0x400000, v19
	v_add3_u32 v20, v28, v19, 0x7fff
	v_or_b32_e32 v28, 0x400000, v21
	v_cndmask_b32_e64 v18, v18, v23, s4
	v_add3_u32 v23, v29, v21, 0x7fff
	v_cmp_u_f32_e64 s4, v21, v21
	v_add3_u32 v29, v30, v22, 0x7fff
	v_or_b32_e32 v30, 0x400000, v22
	v_mul_f32_e32 v17, s21, v17
	v_cndmask_b32_e64 v21, v23, v28, s4
	v_cmp_u_f32_e64 s4, v22, v22
	v_bfe_u32 v25, v17, 16, 1
	v_or_b32_e32 v24, 0x400000, v17
	v_cndmask_b32_e64 v22, v29, v30, s4
	v_cmp_u_f32_e64 s4, v19, v19
	v_add3_u32 v25, v25, v17, 0x7fff
	v_perm_b32 v19, v22, v21, 0x7060302
	v_cndmask_b32_e64 v20, v20, v31, s4
	v_cmp_u_f32_e64 s4, v17, v17
	v_perm_b32 v17, v27, v26, 0x7060302
	v_perm_b32 v18, v20, v18, 0x7060302
	buffer_load_dword v20, off, s[36:39], 0 offset:68 ; 4-byte Folded Reload
	v_cndmask_b32_e64 v23, v25, v24, s4
	v_perm_b32 v16, v23, v16, 0x7060302
	s_waitcnt vmcnt(0)
	global_store_dwordx4 v20, v[16:19], s[18:19]
.LBB38_36:
	s_or_b32 exec_lo, exec_lo, s5
	v_sub_f32_e32 v95, v192, v194
	v_sub_f32_e32 v96, v193, v195
	;; [unrolled: 1-line block ×32, first 2 shown]
	v_add_f32_e32 v20, v95, v103
	v_add_f32_e32 v21, v96, v104
	;; [unrolled: 1-line block ×16, first 2 shown]
	s_and_saveexec_b32 s5, s14
	s_cbranch_execz .LBB38_38
; %bb.37:
	v_add_f32_e32 v127, v20, v27
	v_add_f32_e32 v135, v22, v29
	;; [unrolled: 1-line block ×5, first 2 shown]
	v_mul_f32_e32 v127, s21, v127
	v_mul_f32_e32 v135, s21, v135
	;; [unrolled: 1-line block ×3, first 2 shown]
	v_add_f32_e32 v139, v18, v26
	v_mul_f32_e32 v137, s21, v137
	v_bfe_u32 v192, v127, 16, 1
	v_or_b32_e32 v194, 0x400000, v127
	v_bfe_u32 v195, v135, 16, 1
	v_cmp_u_f32_e64 s4, v127, v127
	v_bfe_u32 v196, v136, 16, 1
	v_add3_u32 v192, v192, v127, 0x7fff
	v_add_f32_e32 v140, v16, v19
	v_or_b32_e32 v197, 0x400000, v136
	v_add_f32_e32 v134, v21, v28
	v_add3_u32 v196, v196, v136, 0x7fff
	v_cndmask_b32_e64 v127, v192, v194, s4
	v_add3_u32 v194, v195, v135, 0x7fff
	v_or_b32_e32 v195, 0x400000, v135
	v_cmp_u_f32_e64 s4, v135, v135
	v_mul_f32_e32 v134, s21, v134
	v_cndmask_b32_e64 v135, v194, v195, s4
	v_bfe_u32 v194, v137, 16, 1
	v_cmp_u_f32_e64 s4, v136, v136
	v_mul_f32_e32 v136, s21, v138
	v_mul_f32_e32 v138, s21, v139
	;; [unrolled: 1-line block ×3, first 2 shown]
	v_add3_u32 v140, v194, v137, 0x7fff
	v_cndmask_b32_e64 v195, v196, v197, s4
	v_or_b32_e32 v194, 0x400000, v137
	v_bfe_u32 v196, v136, 16, 1
	v_bfe_u32 v197, v138, 16, 1
	v_cmp_u_f32_e64 s4, v137, v137
	v_bfe_u32 v198, v139, 16, 1
	v_bfe_u32 v193, v134, 16, 1
	v_add3_u32 v137, v196, v136, 0x7fff
	v_or_b32_e32 v196, 0x400000, v138
	v_cndmask_b32_e64 v140, v140, v194, s4
	v_add3_u32 v194, v197, v138, 0x7fff
	v_cmp_u_f32_e64 s4, v138, v138
	v_add3_u32 v197, v198, v139, 0x7fff
	v_or_b32_e32 v198, 0x400000, v139
	v_or_b32_e32 v199, 0x400000, v136
	v_add3_u32 v193, v193, v134, 0x7fff
	v_cndmask_b32_e64 v138, v194, v196, s4
	v_cmp_u_f32_e64 s4, v139, v139
	v_or_b32_e32 v192, 0x400000, v134
	v_perm_b32 v135, v195, v135, 0x7060302
	v_cndmask_b32_e64 v139, v197, v198, s4
	v_cmp_u_f32_e64 s4, v136, v136
	v_cndmask_b32_e64 v136, v137, v199, s4
	v_cmp_u_f32_e64 s4, v134, v134
	v_perm_b32 v137, v139, v138, 0x7060302
	v_perm_b32 v136, v136, v140, 0x7060302
	v_cndmask_b32_e64 v134, v193, v192, s4
	v_perm_b32 v134, v134, v127, 0x7060302
	buffer_load_dword v127, off, s[36:39], 0 offset:64 ; 4-byte Folded Reload
	s_waitcnt vmcnt(0)
	global_store_dwordx4 v127, v[134:137], s[18:19]
.LBB38_38:
	s_or_b32 exec_lo, exec_lo, s5
	v_sub_f32_e32 v127, v141, v144
	v_sub_f32_e32 v144, v142, v143
	;; [unrolled: 1-line block ×32, first 2 shown]
	v_add_f32_e32 v36, v144, v198
	v_add_f32_e32 v37, v127, v197
	;; [unrolled: 1-line block ×16, first 2 shown]
	s_and_saveexec_b32 s5, s13
	s_cbranch_execz .LBB38_40
; %bb.39:
	v_add_f32_e32 v0, v36, v44
	v_add_f32_e32 v49, v38, v46
	;; [unrolled: 1-line block ×5, first 2 shown]
	v_mul_f32_e32 v0, s21, v0
	v_mul_f32_e32 v49, s21, v49
	;; [unrolled: 1-line block ×3, first 2 shown]
	v_add_f32_e32 v53, v34, v42
	v_mul_f32_e32 v51, s21, v51
	v_bfe_u32 v55, v0, 16, 1
	v_or_b32_e32 v57, 0x400000, v0
	v_bfe_u32 v58, v49, 16, 1
	v_cmp_u_f32_e64 s4, v0, v0
	v_bfe_u32 v60, v50, 16, 1
	v_add3_u32 v55, v55, v0, 0x7fff
	v_add_f32_e32 v54, v32, v35
	v_or_b32_e32 v61, 0x400000, v50
	v_mul_f32_e32 v52, s21, v52
	v_add3_u32 v60, v60, v50, 0x7fff
	v_cndmask_b32_e64 v0, v55, v57, s4
	v_add3_u32 v57, v58, v49, 0x7fff
	v_or_b32_e32 v58, 0x400000, v49
	v_cmp_u_f32_e64 s4, v49, v49
	v_mul_f32_e32 v53, s21, v53
	v_mul_f32_e32 v54, s21, v54
	v_add_f32_e32 v43, v37, v45
	v_or_b32_e32 v63, 0x400000, v52
	v_cndmask_b32_e64 v49, v57, v58, s4
	v_bfe_u32 v57, v51, 16, 1
	v_cmp_u_f32_e64 s4, v50, v50
	v_or_b32_e32 v58, 0x400000, v51
	v_bfe_u32 v62, v54, 16, 1
	v_mul_f32_e32 v43, s21, v43
	v_add3_u32 v57, v57, v51, 0x7fff
	v_cndmask_b32_e64 v50, v60, v61, s4
	v_bfe_u32 v60, v52, 16, 1
	v_bfe_u32 v61, v53, 16, 1
	v_cmp_u_f32_e64 s4, v51, v51
	v_bfe_u32 v56, v43, 16, 1
	v_or_b32_e32 v55, 0x400000, v43
	v_perm_b32 v50, v50, v49, 0x7060302
	v_cndmask_b32_e64 v51, v57, v58, s4
	v_add3_u32 v57, v60, v52, 0x7fff
	v_add3_u32 v58, v61, v53, 0x7fff
	v_or_b32_e32 v60, 0x400000, v53
	v_cmp_u_f32_e64 s4, v53, v53
	v_add3_u32 v61, v62, v54, 0x7fff
	v_or_b32_e32 v62, 0x400000, v54
	v_add3_u32 v56, v56, v43, 0x7fff
	v_cndmask_b32_e64 v53, v58, v60, s4
	v_cmp_u_f32_e64 s4, v54, v54
	v_cndmask_b32_e64 v54, v61, v62, s4
	v_cmp_u_f32_e64 s4, v52, v52
	v_perm_b32 v52, v54, v53, 0x7060302
	v_cndmask_b32_e64 v57, v57, v63, s4
	v_cmp_u_f32_e64 s4, v43, v43
	v_perm_b32 v51, v57, v51, 0x7060302
	v_cndmask_b32_e64 v43, v56, v55, s4
	v_perm_b32 v49, v43, v0, 0x7060302
	buffer_load_dword v0, off, s[36:39], 0 offset:60 ; 4-byte Folded Reload
	s_waitcnt vmcnt(0)
	global_store_dwordx4 v0, v[49:52], s[18:19]
.LBB38_40:
	s_or_b32 exec_lo, exec_lo, s5
	v_sub_f32_e32 v52, v160, v168
	v_sub_f32_e32 v53, v161, v169
	;; [unrolled: 1-line block ×16, first 2 shown]
	s_and_saveexec_b32 s5, s12
	s_cbranch_execz .LBB38_42
; %bb.41:
	v_add_f32_e32 v0, v52, v60
	v_add_f32_e32 v70, v54, v62
	;; [unrolled: 1-line block ×5, first 2 shown]
	v_mul_f32_e32 v0, s21, v0
	v_mul_f32_e32 v70, s21, v70
	;; [unrolled: 1-line block ×3, first 2 shown]
	v_add_f32_e32 v87, v50, v58
	v_mul_f32_e32 v72, s21, v72
	v_bfe_u32 v128, v0, 16, 1
	v_or_b32_e32 v130, 0x400000, v0
	v_bfe_u32 v131, v70, 16, 1
	v_cmp_u_f32_e64 s4, v0, v0
	v_bfe_u32 v132, v71, 16, 1
	v_add3_u32 v128, v128, v0, 0x7fff
	v_add_f32_e32 v88, v43, v51
	v_or_b32_e32 v133, 0x400000, v71
	v_add_f32_e32 v69, v53, v61
	v_add3_u32 v132, v132, v71, 0x7fff
	v_cndmask_b32_e64 v0, v128, v130, s4
	v_add3_u32 v130, v131, v70, 0x7fff
	v_or_b32_e32 v131, 0x400000, v70
	v_cmp_u_f32_e64 s4, v70, v70
	v_mul_f32_e32 v69, s21, v69
	v_cndmask_b32_e64 v70, v130, v131, s4
	v_bfe_u32 v130, v72, 16, 1
	v_cmp_u_f32_e64 s4, v71, v71
	v_mul_f32_e32 v71, s21, v73
	v_mul_f32_e32 v73, s21, v87
	;; [unrolled: 1-line block ×3, first 2 shown]
	v_add3_u32 v88, v130, v72, 0x7fff
	v_cndmask_b32_e64 v131, v132, v133, s4
	v_or_b32_e32 v130, 0x400000, v72
	v_bfe_u32 v132, v71, 16, 1
	v_bfe_u32 v133, v73, 16, 1
	v_cmp_u_f32_e64 s4, v72, v72
	v_bfe_u32 v134, v87, 16, 1
	v_bfe_u32 v129, v69, 16, 1
	v_add3_u32 v72, v132, v71, 0x7fff
	v_or_b32_e32 v132, 0x400000, v73
	v_cndmask_b32_e64 v88, v88, v130, s4
	v_add3_u32 v130, v133, v73, 0x7fff
	v_cmp_u_f32_e64 s4, v73, v73
	v_add3_u32 v133, v134, v87, 0x7fff
	v_or_b32_e32 v134, 0x400000, v87
	v_or_b32_e32 v135, 0x400000, v71
	v_add3_u32 v129, v129, v69, 0x7fff
	v_cndmask_b32_e64 v73, v130, v132, s4
	v_cmp_u_f32_e64 s4, v87, v87
	v_or_b32_e32 v128, 0x400000, v69
	v_perm_b32 v70, v131, v70, 0x7060302
	v_cndmask_b32_e64 v87, v133, v134, s4
	v_cmp_u_f32_e64 s4, v71, v71
	v_cndmask_b32_e64 v71, v72, v135, s4
	v_cmp_u_f32_e64 s4, v69, v69
	v_perm_b32 v72, v87, v73, 0x7060302
	v_perm_b32 v71, v71, v88, 0x7060302
	v_cndmask_b32_e64 v69, v129, v128, s4
	v_perm_b32 v69, v69, v0, 0x7060302
	buffer_load_dword v0, off, s[36:39], 0 offset:56 ; 4-byte Folded Reload
	s_waitcnt vmcnt(0)
	global_store_dwordx4 v0, v[69:72], s[18:19]
.LBB38_42:
	s_or_b32 exec_lo, exec_lo, s5
	v_sub_f32_e32 v69, v146, v59
	v_sub_f32_e32 v70, v208, v65
	;; [unrolled: 1-line block ×16, first 2 shown]
	s_and_saveexec_b32 s5, s11
	s_cbranch_execz .LBB38_44
; %bb.43:
	v_add_f32_e32 v0, v69, v87
	v_add_f32_e32 v74, v71, v89
	;; [unrolled: 1-line block ×5, first 2 shown]
	v_mul_f32_e32 v0, s21, v0
	v_mul_f32_e32 v74, s21, v74
	;; [unrolled: 1-line block ×3, first 2 shown]
	v_add_f32_e32 v80, v67, v79
	v_mul_f32_e32 v76, s21, v76
	v_bfe_u32 v82, v0, 16, 1
	v_or_b32_e32 v84, 0x400000, v0
	v_bfe_u32 v85, v74, 16, 1
	v_cmp_u_f32_e64 s4, v0, v0
	v_bfe_u32 v86, v75, 16, 1
	v_add3_u32 v82, v82, v0, 0x7fff
	v_add_f32_e32 v81, v59, v68
	v_or_b32_e32 v92, 0x400000, v75
	v_mul_f32_e32 v77, s21, v77
	v_add3_u32 v86, v86, v75, 0x7fff
	v_cndmask_b32_e64 v0, v82, v84, s4
	v_add3_u32 v84, v85, v74, 0x7fff
	v_or_b32_e32 v85, 0x400000, v74
	v_cmp_u_f32_e64 s4, v74, v74
	v_mul_f32_e32 v80, s21, v80
	v_mul_f32_e32 v81, s21, v81
	v_add_f32_e32 v65, v70, v88
	v_or_b32_e32 v94, 0x400000, v77
	v_cndmask_b32_e64 v74, v84, v85, s4
	v_bfe_u32 v84, v76, 16, 1
	v_cmp_u_f32_e64 s4, v75, v75
	v_or_b32_e32 v85, 0x400000, v76
	v_bfe_u32 v93, v81, 16, 1
	v_mul_f32_e32 v65, s21, v65
	v_add3_u32 v84, v84, v76, 0x7fff
	v_cndmask_b32_e64 v75, v86, v92, s4
	v_bfe_u32 v86, v77, 16, 1
	v_bfe_u32 v92, v80, 16, 1
	v_cmp_u_f32_e64 s4, v76, v76
	v_bfe_u32 v83, v65, 16, 1
	v_or_b32_e32 v82, 0x400000, v65
	v_perm_b32 v75, v75, v74, 0x7060302
	v_cndmask_b32_e64 v76, v84, v85, s4
	v_add3_u32 v84, v86, v77, 0x7fff
	v_add3_u32 v85, v92, v80, 0x7fff
	v_or_b32_e32 v86, 0x400000, v80
	v_cmp_u_f32_e64 s4, v80, v80
	v_add3_u32 v92, v93, v81, 0x7fff
	v_or_b32_e32 v93, 0x400000, v81
	v_add3_u32 v83, v83, v65, 0x7fff
	v_cndmask_b32_e64 v80, v85, v86, s4
	v_cmp_u_f32_e64 s4, v81, v81
	v_cndmask_b32_e64 v81, v92, v93, s4
	v_cmp_u_f32_e64 s4, v77, v77
	v_perm_b32 v77, v81, v80, 0x7060302
	v_cndmask_b32_e64 v84, v84, v94, s4
	v_cmp_u_f32_e64 s4, v65, v65
	v_perm_b32 v76, v84, v76, 0x7060302
	v_cndmask_b32_e64 v65, v83, v82, s4
	v_perm_b32 v74, v65, v0, 0x7060302
	buffer_load_dword v0, off, s[36:39], 0 offset:52 ; 4-byte Folded Reload
	s_waitcnt vmcnt(0)
	global_store_dwordx4 v0, v[74:77], s[18:19]
.LBB38_44:
	s_or_b32 exec_lo, exec_lo, s5
	v_sub_f32_e32 v81, v95, v103
	v_sub_f32_e32 v82, v96, v104
	;; [unrolled: 1-line block ×16, first 2 shown]
	s_and_saveexec_b32 s5, s10
	s_cbranch_execz .LBB38_46
; %bb.45:
	v_add_f32_e32 v0, v81, v101
	v_add_f32_e32 v80, v83, v103
	;; [unrolled: 1-line block ×5, first 2 shown]
	v_mul_f32_e32 v0, s21, v0
	v_mul_f32_e32 v80, s21, v80
	;; [unrolled: 1-line block ×3, first 2 shown]
	v_add_f32_e32 v96, v75, v93
	v_mul_f32_e32 v94, s21, v94
	v_bfe_u32 v98, v0, 16, 1
	v_or_b32_e32 v100, 0x400000, v0
	v_bfe_u32 v106, v80, 16, 1
	v_cmp_u_f32_e64 s4, v0, v0
	v_bfe_u32 v107, v86, 16, 1
	v_add3_u32 v98, v98, v0, 0x7fff
	v_add_f32_e32 v97, v65, v76
	v_or_b32_e32 v108, 0x400000, v86
	v_mul_f32_e32 v95, s21, v95
	v_add3_u32 v107, v107, v86, 0x7fff
	v_cndmask_b32_e64 v0, v98, v100, s4
	v_add3_u32 v100, v106, v80, 0x7fff
	v_or_b32_e32 v106, 0x400000, v80
	v_cmp_u_f32_e64 s4, v80, v80
	v_mul_f32_e32 v96, s21, v96
	v_mul_f32_e32 v97, s21, v97
	v_add_f32_e32 v77, v82, v102
	v_or_b32_e32 v110, 0x400000, v95
	v_cndmask_b32_e64 v80, v100, v106, s4
	v_bfe_u32 v100, v94, 16, 1
	v_cmp_u_f32_e64 s4, v86, v86
	v_or_b32_e32 v106, 0x400000, v94
	v_bfe_u32 v109, v97, 16, 1
	v_mul_f32_e32 v77, s21, v77
	v_add3_u32 v100, v100, v94, 0x7fff
	v_cndmask_b32_e64 v86, v107, v108, s4
	v_bfe_u32 v107, v95, 16, 1
	v_bfe_u32 v108, v96, 16, 1
	v_cmp_u_f32_e64 s4, v94, v94
	v_bfe_u32 v99, v77, 16, 1
	v_or_b32_e32 v98, 0x400000, v77
	v_cndmask_b32_e64 v94, v100, v106, s4
	v_add3_u32 v100, v107, v95, 0x7fff
	v_add3_u32 v106, v108, v96, 0x7fff
	v_or_b32_e32 v107, 0x400000, v96
	v_cmp_u_f32_e64 s4, v96, v96
	v_add3_u32 v108, v109, v97, 0x7fff
	v_or_b32_e32 v109, 0x400000, v97
	v_add3_u32 v99, v99, v77, 0x7fff
	v_cndmask_b32_e64 v96, v106, v107, s4
	v_cmp_u_f32_e64 s4, v97, v97
	v_cndmask_b32_e64 v97, v108, v109, s4
	v_cmp_u_f32_e64 s4, v95, v95
	v_perm_b32 v97, v97, v96, 0x7060302
	v_cndmask_b32_e64 v95, v100, v110, s4
	v_cmp_u_f32_e64 s4, v77, v77
	v_perm_b32 v96, v95, v94, 0x7060302
	v_cndmask_b32_e64 v77, v99, v98, s4
	v_perm_b32 v95, v86, v80, 0x7060302
	v_perm_b32 v94, v77, v0, 0x7060302
	buffer_load_dword v0, off, s[36:39], 0 offset:48 ; 4-byte Folded Reload
	s_waitcnt vmcnt(0)
	global_store_dwordx4 v0, v[94:97], s[18:19]
.LBB38_46:
	s_or_b32 exec_lo, exec_lo, s5
	v_sub_f32_e32 v94, v127, v197
	v_sub_f32_e32 v96, v144, v198
	;; [unrolled: 1-line block ×16, first 2 shown]
	s_and_saveexec_b32 s5, s9
	s_cbranch_execnz .LBB38_56
; %bb.47:
	s_or_b32 exec_lo, exec_lo, s5
	s_and_saveexec_b32 s5, s8
	s_cbranch_execnz .LBB38_57
.LBB38_48:
	s_or_b32 exec_lo, exec_lo, s5
	s_and_saveexec_b32 s5, s7
	s_cbranch_execnz .LBB38_58
.LBB38_49:
	s_or_b32 exec_lo, exec_lo, s5
	s_and_saveexec_b32 s5, s17
	s_cbranch_execnz .LBB38_59
.LBB38_50:
	s_or_b32 exec_lo, exec_lo, s5
	s_and_saveexec_b32 s4, s3
	s_cbranch_execnz .LBB38_60
.LBB38_51:
	s_or_b32 exec_lo, exec_lo, s4
	s_and_saveexec_b32 s3, s2
	s_cbranch_execnz .LBB38_61
.LBB38_52:
	s_or_b32 exec_lo, exec_lo, s3
	s_and_saveexec_b32 s2, s1
	s_cbranch_execnz .LBB38_62
.LBB38_53:
	s_or_b32 exec_lo, exec_lo, s2
	s_and_saveexec_b32 s1, s0
	s_cbranch_execnz .LBB38_63
.LBB38_54:
	s_or_b32 exec_lo, exec_lo, s1
	s_and_saveexec_b32 s0, vcc_lo
	s_cbranch_execnz .LBB38_64
.LBB38_55:
	s_endpgm
.LBB38_56:
	v_add_f32_e32 v0, v96, v109
	v_add_f32_e32 v113, v97, v110
	;; [unrolled: 1-line block ×5, first 2 shown]
	v_mul_f32_e32 v0, s21, v0
	v_mul_f32_e32 v113, s21, v113
	;; [unrolled: 1-line block ×3, first 2 shown]
	v_add_f32_e32 v117, v86, v106
	v_mul_f32_e32 v115, s21, v115
	v_bfe_u32 v119, v0, 16, 1
	v_or_b32_e32 v121, 0x400000, v0
	v_bfe_u32 v122, v113, 16, 1
	v_cmp_u_f32_e64 s4, v0, v0
	v_bfe_u32 v123, v114, 16, 1
	v_add3_u32 v119, v119, v0, 0x7fff
	v_add_f32_e32 v118, v77, v99
	v_or_b32_e32 v124, 0x400000, v114
	v_add_f32_e32 v112, v94, v107
	v_add3_u32 v123, v123, v114, 0x7fff
	v_cndmask_b32_e64 v0, v119, v121, s4
	v_add3_u32 v121, v122, v113, 0x7fff
	v_or_b32_e32 v122, 0x400000, v113
	v_cmp_u_f32_e64 s4, v113, v113
	v_mul_f32_e32 v112, s21, v112
	v_cndmask_b32_e64 v113, v121, v122, s4
	v_bfe_u32 v121, v115, 16, 1
	v_cmp_u_f32_e64 s4, v114, v114
	v_mul_f32_e32 v114, s21, v116
	v_mul_f32_e32 v116, s21, v117
	;; [unrolled: 1-line block ×3, first 2 shown]
	v_add3_u32 v118, v121, v115, 0x7fff
	v_cndmask_b32_e64 v122, v123, v124, s4
	v_or_b32_e32 v121, 0x400000, v115
	v_bfe_u32 v123, v114, 16, 1
	v_bfe_u32 v124, v116, 16, 1
	v_cmp_u_f32_e64 s4, v115, v115
	v_bfe_u32 v125, v117, 16, 1
	v_bfe_u32 v120, v112, 16, 1
	v_add3_u32 v115, v123, v114, 0x7fff
	v_or_b32_e32 v123, 0x400000, v116
	v_cndmask_b32_e64 v118, v118, v121, s4
	v_add3_u32 v121, v124, v116, 0x7fff
	v_cmp_u_f32_e64 s4, v116, v116
	v_add3_u32 v124, v125, v117, 0x7fff
	v_or_b32_e32 v125, 0x400000, v117
	v_or_b32_e32 v126, 0x400000, v114
	v_add3_u32 v120, v120, v112, 0x7fff
	v_cndmask_b32_e64 v116, v121, v123, s4
	v_cmp_u_f32_e64 s4, v117, v117
	v_or_b32_e32 v119, 0x400000, v112
	v_perm_b32 v113, v122, v113, 0x7060302
	v_cndmask_b32_e64 v117, v124, v125, s4
	v_cmp_u_f32_e64 s4, v114, v114
	v_cndmask_b32_e64 v114, v115, v126, s4
	v_cmp_u_f32_e64 s4, v112, v112
	v_perm_b32 v115, v117, v116, 0x7060302
	v_perm_b32 v114, v114, v118, 0x7060302
	v_cndmask_b32_e64 v112, v120, v119, s4
	v_perm_b32 v112, v112, v0, 0x7060302
	buffer_load_dword v0, off, s[36:39], 0 offset:44 ; 4-byte Folded Reload
	s_waitcnt vmcnt(0)
	global_store_dwordx4 v0, v[112:115], s[18:19]
	s_or_b32 exec_lo, exec_lo, s5
	s_and_saveexec_b32 s5, s8
	s_cbranch_execz .LBB38_48
.LBB38_57:
	s_clause 0x1
	buffer_load_dword v0, off, s[36:39], 0 offset:88
	buffer_load_dword v112, off, s[36:39], 0 offset:116
	s_waitcnt vmcnt(0)
	v_sub_f32_e32 v0, v0, v112
	s_clause 0x1
	buffer_load_dword v112, off, s[36:39], 0 offset:92
	buffer_load_dword v113, off, s[36:39], 0 offset:120
	v_mul_f32_e32 v0, s21, v0
	v_or_b32_e32 v121, 0x400000, v0
	v_cmp_u_f32_e64 s4, v0, v0
	s_waitcnt vmcnt(0)
	v_sub_f32_e32 v112, v112, v113
	s_clause 0x1
	buffer_load_dword v113, off, s[36:39], 0 offset:96
	buffer_load_dword v114, off, s[36:39], 0 offset:124
	v_mul_f32_e32 v112, s21, v112
	v_bfe_u32 v120, v112, 16, 1
	v_add3_u32 v120, v120, v112, 0x7fff
	s_waitcnt vmcnt(0)
	v_sub_f32_e32 v113, v113, v114
	s_clause 0x1
	buffer_load_dword v114, off, s[36:39], 0 offset:100
	buffer_load_dword v115, off, s[36:39], 0 offset:128
	v_mul_f32_e32 v113, s21, v113
	v_bfe_u32 v122, v113, 16, 1
	s_waitcnt vmcnt(0)
	v_sub_f32_e32 v114, v114, v115
	s_clause 0x1
	buffer_load_dword v115, off, s[36:39], 0 offset:104
	buffer_load_dword v116, off, s[36:39], 0 offset:132
	v_mul_f32_e32 v114, s21, v114
	v_bfe_u32 v123, v114, 16, 1
	v_or_b32_e32 v124, 0x400000, v114
	v_add3_u32 v123, v123, v114, 0x7fff
	s_waitcnt vmcnt(0)
	v_sub_f32_e32 v115, v115, v116
	s_clause 0x1
	buffer_load_dword v116, off, s[36:39], 0 offset:76
	buffer_load_dword v117, off, s[36:39], 0 offset:108
	v_mul_f32_e32 v115, s21, v115
	s_waitcnt vmcnt(0)
	v_sub_f32_e32 v116, v116, v117
	s_clause 0x1
	buffer_load_dword v117, off, s[36:39], 0 offset:80
	buffer_load_dword v118, off, s[36:39], 0 offset:112
	s_waitcnt vmcnt(0)
	v_sub_f32_e32 v117, v117, v118
	s_clause 0x1
	buffer_load_dword v118, off, s[36:39], 0 offset:72
	buffer_load_dword v119, off, s[36:39], 0 offset:84
	s_waitcnt vmcnt(0)
	v_sub_f32_e32 v118, v118, v119
	v_bfe_u32 v119, v0, 16, 1
	v_add3_u32 v119, v119, v0, 0x7fff
	v_cndmask_b32_e64 v0, v119, v121, s4
	v_add3_u32 v121, v122, v113, 0x7fff
	v_or_b32_e32 v122, 0x400000, v113
	v_cmp_u_f32_e64 s4, v113, v113
	v_or_b32_e32 v119, 0x400000, v112
	v_cndmask_b32_e64 v113, v121, v122, s4
	v_bfe_u32 v121, v115, 16, 1
	v_cmp_u_f32_e64 s4, v114, v114
	v_mul_f32_e32 v114, s21, v116
	v_mul_f32_e32 v116, s21, v117
	;; [unrolled: 1-line block ×3, first 2 shown]
	v_add3_u32 v118, v121, v115, 0x7fff
	v_cndmask_b32_e64 v122, v123, v124, s4
	v_or_b32_e32 v121, 0x400000, v115
	v_bfe_u32 v123, v114, 16, 1
	v_bfe_u32 v124, v116, 16, 1
	v_cmp_u_f32_e64 s4, v115, v115
	v_bfe_u32 v125, v117, 16, 1
	v_or_b32_e32 v126, 0x400000, v114
	v_add3_u32 v115, v123, v114, 0x7fff
	v_or_b32_e32 v123, 0x400000, v116
	v_cndmask_b32_e64 v118, v118, v121, s4
	v_add3_u32 v121, v124, v116, 0x7fff
	v_cmp_u_f32_e64 s4, v116, v116
	v_add3_u32 v124, v125, v117, 0x7fff
	v_or_b32_e32 v125, 0x400000, v117
	v_perm_b32 v113, v122, v113, 0x7060302
	v_cndmask_b32_e64 v116, v121, v123, s4
	v_cmp_u_f32_e64 s4, v117, v117
	v_cndmask_b32_e64 v117, v124, v125, s4
	v_cmp_u_f32_e64 s4, v114, v114
	v_cndmask_b32_e64 v114, v115, v126, s4
	v_cmp_u_f32_e64 s4, v112, v112
	v_perm_b32 v115, v117, v116, 0x7060302
	v_perm_b32 v114, v114, v118, 0x7060302
	v_cndmask_b32_e64 v112, v120, v119, s4
	v_perm_b32 v112, v112, v0, 0x7060302
	buffer_load_dword v0, off, s[36:39], 0 offset:40 ; 4-byte Folded Reload
	s_waitcnt vmcnt(0)
	global_store_dwordx4 v0, v[112:115], s[18:19]
	s_or_b32 exec_lo, exec_lo, s5
	s_and_saveexec_b32 s5, s7
	s_cbranch_execz .LBB38_49
.LBB38_58:
	v_sub_f32_e32 v0, v4, v11
	v_sub_f32_e32 v4, v5, v12
	;; [unrolled: 1-line block ×5, first 2 shown]
	buffer_load_dword v8, off, s[36:39], 0 offset:136 ; 4-byte Folded Reload
	v_mul_f32_e32 v0, s21, v0
	v_mul_f32_e32 v5, s21, v5
	v_sub_f32_e32 v2, v2, v10
	v_mul_f32_e32 v6, s21, v6
	v_sub_f32_e32 v1, v1, v9
	v_or_b32_e32 v10, 0x400000, v0
	v_bfe_u32 v11, v5, 16, 1
	v_cmp_u_f32_e64 s4, v0, v0
	v_bfe_u32 v12, v6, 16, 1
	v_mul_f32_e32 v7, s21, v7
	v_or_b32_e32 v13, 0x400000, v6
	v_mul_f32_e32 v1, s21, v1
	v_mul_f32_e32 v2, s21, v2
	v_add3_u32 v12, v12, v6, 0x7fff
	v_mul_f32_e32 v4, s21, v4
	v_or_b32_e32 v15, 0x400000, v1
	v_bfe_u32 v9, v4, 16, 1
	v_add3_u32 v9, v9, v4, 0x7fff
	s_waitcnt vmcnt(0)
	v_sub_f32_e32 v3, v8, v3
	v_bfe_u32 v8, v0, 16, 1
	v_mul_f32_e32 v3, s21, v3
	v_add3_u32 v8, v8, v0, 0x7fff
	v_bfe_u32 v14, v3, 16, 1
	v_cndmask_b32_e64 v0, v8, v10, s4
	v_add3_u32 v10, v11, v5, 0x7fff
	v_or_b32_e32 v11, 0x400000, v5
	v_cmp_u_f32_e64 s4, v5, v5
	v_or_b32_e32 v8, 0x400000, v4
	v_cndmask_b32_e64 v5, v10, v11, s4
	v_bfe_u32 v10, v7, 16, 1
	v_cmp_u_f32_e64 s4, v6, v6
	v_or_b32_e32 v11, 0x400000, v7
	v_add3_u32 v10, v10, v7, 0x7fff
	v_cndmask_b32_e64 v6, v12, v13, s4
	v_bfe_u32 v12, v1, 16, 1
	v_bfe_u32 v13, v2, 16, 1
	v_cmp_u_f32_e64 s4, v7, v7
	v_cndmask_b32_e64 v7, v10, v11, s4
	v_add3_u32 v10, v12, v1, 0x7fff
	v_add3_u32 v11, v13, v2, 0x7fff
	v_or_b32_e32 v12, 0x400000, v2
	v_cmp_u_f32_e64 s4, v2, v2
	v_add3_u32 v13, v14, v3, 0x7fff
	v_or_b32_e32 v14, 0x400000, v3
	v_cndmask_b32_e64 v2, v11, v12, s4
	v_cmp_u_f32_e64 s4, v3, v3
	v_cndmask_b32_e64 v3, v13, v14, s4
	v_cmp_u_f32_e64 s4, v1, v1
	v_perm_b32 v3, v3, v2, 0x7060302
	v_cndmask_b32_e64 v1, v10, v15, s4
	v_cmp_u_f32_e64 s4, v4, v4
	v_perm_b32 v2, v1, v7, 0x7060302
	v_cndmask_b32_e64 v4, v9, v8, s4
	v_perm_b32 v1, v6, v5, 0x7060302
	v_perm_b32 v0, v4, v0, 0x7060302
	buffer_load_dword v4, off, s[36:39], 0 offset:36 ; 4-byte Folded Reload
	s_waitcnt vmcnt(0)
	global_store_dwordx4 v4, v[0:3], s[18:19]
	s_or_b32 exec_lo, exec_lo, s5
	s_and_saveexec_b32 s5, s17
	s_cbranch_execz .LBB38_50
.LBB38_59:
	v_sub_f32_e32 v0, v20, v27
	v_sub_f32_e32 v2, v22, v29
	;; [unrolled: 1-line block ×5, first 2 shown]
	v_mul_f32_e32 v0, s21, v0
	v_mul_f32_e32 v2, s21, v2
	;; [unrolled: 1-line block ×3, first 2 shown]
	v_sub_f32_e32 v6, v18, v26
	v_mul_f32_e32 v4, s21, v4
	v_bfe_u32 v8, v0, 16, 1
	v_or_b32_e32 v10, 0x400000, v0
	v_bfe_u32 v11, v2, 16, 1
	v_cmp_u_f32_e64 s4, v0, v0
	v_bfe_u32 v12, v3, 16, 1
	v_add3_u32 v8, v8, v0, 0x7fff
	v_sub_f32_e32 v7, v16, v19
	v_or_b32_e32 v13, 0x400000, v3
	v_sub_f32_e32 v1, v21, v28
	v_add3_u32 v12, v12, v3, 0x7fff
	v_cndmask_b32_e64 v0, v8, v10, s4
	v_add3_u32 v10, v11, v2, 0x7fff
	v_or_b32_e32 v11, 0x400000, v2
	v_cmp_u_f32_e64 s4, v2, v2
	v_bfe_u32 v2, v4, 16, 1
	v_mul_f32_e32 v1, s21, v1
	v_cndmask_b32_e64 v10, v10, v11, s4
	v_cmp_u_f32_e64 s4, v3, v3
	v_mul_f32_e32 v3, s21, v5
	v_mul_f32_e32 v5, s21, v6
	v_mul_f32_e32 v6, s21, v7
	v_add3_u32 v2, v2, v4, 0x7fff
	v_cndmask_b32_e64 v11, v12, v13, s4
	v_or_b32_e32 v7, 0x400000, v4
	v_bfe_u32 v12, v3, 16, 1
	v_bfe_u32 v13, v5, 16, 1
	v_cmp_u_f32_e64 s4, v4, v4
	v_bfe_u32 v14, v6, 16, 1
	v_or_b32_e32 v15, 0x400000, v3
	v_add3_u32 v4, v12, v3, 0x7fff
	v_or_b32_e32 v12, 0x400000, v5
	v_cndmask_b32_e64 v2, v2, v7, s4
	v_add3_u32 v7, v13, v5, 0x7fff
	v_cmp_u_f32_e64 s4, v5, v5
	v_add3_u32 v13, v14, v6, 0x7fff
	v_or_b32_e32 v14, 0x400000, v6
	v_bfe_u32 v9, v1, 16, 1
	v_or_b32_e32 v8, 0x400000, v1
	v_cndmask_b32_e64 v5, v7, v12, s4
	v_cmp_u_f32_e64 s4, v6, v6
	v_add3_u32 v9, v9, v1, 0x7fff
	v_cndmask_b32_e64 v6, v13, v14, s4
	v_cmp_u_f32_e64 s4, v3, v3
	v_perm_b32 v3, v6, v5, 0x7060302
	v_cndmask_b32_e64 v4, v4, v15, s4
	v_cmp_u_f32_e64 s4, v1, v1
	v_perm_b32 v1, v11, v10, 0x7060302
	v_perm_b32 v2, v4, v2, 0x7060302
	buffer_load_dword v4, off, s[36:39], 0 offset:32 ; 4-byte Folded Reload
	v_cndmask_b32_e64 v7, v9, v8, s4
	v_perm_b32 v0, v7, v0, 0x7060302
	s_waitcnt vmcnt(0)
	global_store_dwordx4 v4, v[0:3], s[18:19]
	s_or_b32 exec_lo, exec_lo, s5
	s_and_saveexec_b32 s4, s3
	s_cbranch_execz .LBB38_51
.LBB38_60:
	v_sub_f32_e32 v0, v36, v44
	v_sub_f32_e32 v2, v38, v46
	;; [unrolled: 1-line block ×5, first 2 shown]
	v_mul_f32_e32 v0, s21, v0
	v_mul_f32_e32 v2, s21, v2
	;; [unrolled: 1-line block ×3, first 2 shown]
	v_sub_f32_e32 v6, v34, v42
	v_mul_f32_e32 v4, s21, v4
	v_bfe_u32 v8, v0, 16, 1
	v_or_b32_e32 v10, 0x400000, v0
	v_bfe_u32 v11, v2, 16, 1
	v_cmp_u_f32_e64 s3, v0, v0
	v_bfe_u32 v12, v3, 16, 1
	v_add3_u32 v8, v8, v0, 0x7fff
	v_sub_f32_e32 v7, v32, v35
	v_or_b32_e32 v13, 0x400000, v3
	v_sub_f32_e32 v1, v37, v45
	v_add3_u32 v12, v12, v3, 0x7fff
	v_cndmask_b32_e64 v0, v8, v10, s3
	v_add3_u32 v10, v11, v2, 0x7fff
	v_or_b32_e32 v11, 0x400000, v2
	v_cmp_u_f32_e64 s3, v2, v2
	v_bfe_u32 v2, v4, 16, 1
	v_mul_f32_e32 v1, s21, v1
	v_cndmask_b32_e64 v10, v10, v11, s3
	v_cmp_u_f32_e64 s3, v3, v3
	v_mul_f32_e32 v3, s21, v5
	v_mul_f32_e32 v5, s21, v6
	;; [unrolled: 1-line block ×3, first 2 shown]
	v_add3_u32 v2, v2, v4, 0x7fff
	v_cndmask_b32_e64 v11, v12, v13, s3
	v_or_b32_e32 v7, 0x400000, v4
	v_bfe_u32 v12, v3, 16, 1
	v_bfe_u32 v13, v5, 16, 1
	v_cmp_u_f32_e64 s3, v4, v4
	v_bfe_u32 v14, v6, 16, 1
	v_or_b32_e32 v15, 0x400000, v3
	v_add3_u32 v4, v12, v3, 0x7fff
	v_or_b32_e32 v12, 0x400000, v5
	v_cndmask_b32_e64 v2, v2, v7, s3
	v_add3_u32 v7, v13, v5, 0x7fff
	v_cmp_u_f32_e64 s3, v5, v5
	v_add3_u32 v13, v14, v6, 0x7fff
	v_or_b32_e32 v14, 0x400000, v6
	v_bfe_u32 v9, v1, 16, 1
	v_or_b32_e32 v8, 0x400000, v1
	v_cndmask_b32_e64 v5, v7, v12, s3
	v_cmp_u_f32_e64 s3, v6, v6
	v_add3_u32 v9, v9, v1, 0x7fff
	v_cndmask_b32_e64 v6, v13, v14, s3
	v_cmp_u_f32_e64 s3, v3, v3
	v_perm_b32 v3, v6, v5, 0x7060302
	v_cndmask_b32_e64 v4, v4, v15, s3
	v_cmp_u_f32_e64 s3, v1, v1
	v_perm_b32 v1, v11, v10, 0x7060302
	v_perm_b32 v2, v4, v2, 0x7060302
	buffer_load_dword v4, off, s[36:39], 0 offset:28 ; 4-byte Folded Reload
	v_cndmask_b32_e64 v7, v9, v8, s3
	v_perm_b32 v0, v7, v0, 0x7060302
	s_waitcnt vmcnt(0)
	global_store_dwordx4 v4, v[0:3], s[18:19]
	s_or_b32 exec_lo, exec_lo, s4
	s_and_saveexec_b32 s3, s2
	s_cbranch_execz .LBB38_52
.LBB38_61:
	v_sub_f32_e32 v0, v52, v60
	v_sub_f32_e32 v2, v54, v62
	;; [unrolled: 1-line block ×5, first 2 shown]
	v_mul_f32_e32 v0, s21, v0
	v_mul_f32_e32 v2, s21, v2
	;; [unrolled: 1-line block ×3, first 2 shown]
	v_sub_f32_e32 v6, v50, v58
	v_mul_f32_e32 v4, s21, v4
	v_bfe_u32 v8, v0, 16, 1
	v_or_b32_e32 v10, 0x400000, v0
	v_bfe_u32 v11, v2, 16, 1
	v_cmp_u_f32_e64 s2, v0, v0
	v_bfe_u32 v12, v3, 16, 1
	v_add3_u32 v8, v8, v0, 0x7fff
	v_sub_f32_e32 v7, v43, v51
	v_or_b32_e32 v13, 0x400000, v3
	v_sub_f32_e32 v1, v53, v61
	v_add3_u32 v12, v12, v3, 0x7fff
	v_cndmask_b32_e64 v0, v8, v10, s2
	v_add3_u32 v10, v11, v2, 0x7fff
	v_or_b32_e32 v11, 0x400000, v2
	v_cmp_u_f32_e64 s2, v2, v2
	v_bfe_u32 v2, v4, 16, 1
	v_mul_f32_e32 v1, s21, v1
	v_cndmask_b32_e64 v10, v10, v11, s2
	v_cmp_u_f32_e64 s2, v3, v3
	v_mul_f32_e32 v3, s21, v5
	v_mul_f32_e32 v5, s21, v6
	v_mul_f32_e32 v6, s21, v7
	v_add3_u32 v2, v2, v4, 0x7fff
	v_cndmask_b32_e64 v11, v12, v13, s2
	v_or_b32_e32 v7, 0x400000, v4
	v_bfe_u32 v12, v3, 16, 1
	v_bfe_u32 v13, v5, 16, 1
	v_cmp_u_f32_e64 s2, v4, v4
	v_bfe_u32 v14, v6, 16, 1
	v_or_b32_e32 v15, 0x400000, v3
	v_add3_u32 v4, v12, v3, 0x7fff
	v_or_b32_e32 v12, 0x400000, v5
	v_cndmask_b32_e64 v2, v2, v7, s2
	v_add3_u32 v7, v13, v5, 0x7fff
	v_cmp_u_f32_e64 s2, v5, v5
	v_add3_u32 v13, v14, v6, 0x7fff
	v_or_b32_e32 v14, 0x400000, v6
	v_bfe_u32 v9, v1, 16, 1
	v_or_b32_e32 v8, 0x400000, v1
	v_cndmask_b32_e64 v5, v7, v12, s2
	v_cmp_u_f32_e64 s2, v6, v6
	v_add3_u32 v9, v9, v1, 0x7fff
	v_cndmask_b32_e64 v6, v13, v14, s2
	v_cmp_u_f32_e64 s2, v3, v3
	v_perm_b32 v3, v6, v5, 0x7060302
	v_cndmask_b32_e64 v4, v4, v15, s2
	v_cmp_u_f32_e64 s2, v1, v1
	v_perm_b32 v1, v11, v10, 0x7060302
	v_perm_b32 v2, v4, v2, 0x7060302
	buffer_load_dword v4, off, s[36:39], 0 offset:24 ; 4-byte Folded Reload
	v_cndmask_b32_e64 v7, v9, v8, s2
	v_perm_b32 v0, v7, v0, 0x7060302
	s_waitcnt vmcnt(0)
	global_store_dwordx4 v4, v[0:3], s[18:19]
	s_or_b32 exec_lo, exec_lo, s3
	s_and_saveexec_b32 s2, s1
	s_cbranch_execz .LBB38_53
.LBB38_62:
	v_sub_f32_e32 v0, v69, v87
	v_sub_f32_e32 v1, v70, v88
	;; [unrolled: 1-line block ×5, first 2 shown]
	v_mul_f32_e32 v0, s21, v0
	v_mul_f32_e32 v1, s21, v1
	;; [unrolled: 1-line block ×5, first 2 shown]
	v_bfe_u32 v8, v0, 16, 1
	v_bfe_u32 v9, v1, 16, 1
	v_or_b32_e32 v10, 0x400000, v0
	v_cmp_u_f32_e64 s1, v0, v0
	v_or_b32_e32 v11, 0x400000, v1
	v_add3_u32 v8, v8, v0, 0x7fff
	v_bfe_u32 v12, v2, 16, 1
	v_add3_u32 v9, v9, v1, 0x7fff
	v_bfe_u32 v0, v3, 16, 1
	v_sub_f32_e32 v5, v66, v78
	v_cndmask_b32_e64 v8, v8, v10, s1
	v_cmp_u_f32_e64 s1, v1, v1
	v_add3_u32 v1, v12, v2, 0x7fff
	v_or_b32_e32 v10, 0x400000, v2
	v_add3_u32 v0, v0, v3, 0x7fff
	v_bfe_u32 v12, v4, 16, 1
	v_cndmask_b32_e64 v9, v9, v11, s1
	v_cmp_u_f32_e64 s1, v2, v2
	v_or_b32_e32 v11, 0x400000, v3
	v_sub_f32_e32 v6, v67, v79
	v_mul_f32_e32 v5, s21, v5
	v_sub_f32_e32 v7, v59, v68
	v_cndmask_b32_e64 v10, v1, v10, s1
	v_cmp_u_f32_e64 s1, v3, v3
	v_or_b32_e32 v2, 0x400000, v4
	v_bfe_u32 v1, v5, 16, 1
	v_mul_f32_e32 v3, s21, v6
	v_mul_f32_e32 v6, s21, v7
	v_cndmask_b32_e64 v11, v0, v11, s1
	v_add3_u32 v0, v12, v4, 0x7fff
	s_clause 0x1
	buffer_load_dword v12, off, s[36:39], 0 offset:16
	buffer_load_dword v13, off, s[36:39], 0 offset:20
	v_cmp_u_f32_e64 s1, v4, v4
	v_add3_u32 v1, v1, v5, 0x7fff
	v_or_b32_e32 v7, 0x400000, v5
	v_bfe_u32 v4, v6, 16, 1
	v_mov_b32_e32 v15, 0
	v_cndmask_b32_e64 v2, v0, v2, s1
	v_bfe_u32 v0, v3, 16, 1
	v_cmp_u_f32_e64 s1, v5, v5
	v_add3_u32 v4, v4, v6, 0x7fff
	s_waitcnt vmcnt(0)
	v_or_b32_e32 v13, 0x400000, v6
	v_add3_u32 v5, v0, v3, 0x7fff
	v_cndmask_b32_e64 v7, v1, v7, s1
	v_cmp_u_f32_e64 s1, v3, v3
	v_perm_b32 v2, v7, v2, 0x7060302
	v_mov_b32_e32 v14, v12
	v_or_b32_e32 v12, 0x400000, v3
	v_lshlrev_b64 v[0:1], 4, v[14:15]
	v_cndmask_b32_e64 v3, v5, v12, s1
	v_cmp_u_f32_e64 s1, v6, v6
	v_cndmask_b32_e64 v6, v4, v13, s1
	v_add_co_u32 v4, s1, s18, v0
	v_add_co_ci_u32_e64 v5, null, s19, v1, s1
	v_perm_b32 v3, v6, v3, 0x7060302
	v_perm_b32 v1, v11, v10, 0x7060302
	;; [unrolled: 1-line block ×3, first 2 shown]
	global_store_dwordx4 v[4:5], v[0:3], off
	s_or_b32 exec_lo, exec_lo, s2
	s_and_saveexec_b32 s1, s0
	s_cbranch_execz .LBB38_54
.LBB38_63:
	v_sub_f32_e32 v0, v81, v101
	v_sub_f32_e32 v1, v82, v102
	v_sub_f32_e32 v2, v83, v103
	v_sub_f32_e32 v3, v84, v104
	v_sub_f32_e32 v4, v85, v105
	v_mul_f32_e32 v0, s21, v0
	v_mul_f32_e32 v1, s21, v1
	;; [unrolled: 1-line block ×5, first 2 shown]
	v_bfe_u32 v8, v0, 16, 1
	v_bfe_u32 v9, v1, 16, 1
	v_or_b32_e32 v10, 0x400000, v0
	v_cmp_u_f32_e64 s0, v0, v0
	v_or_b32_e32 v11, 0x400000, v1
	v_add3_u32 v8, v8, v0, 0x7fff
	v_bfe_u32 v12, v2, 16, 1
	v_add3_u32 v9, v9, v1, 0x7fff
	v_bfe_u32 v0, v3, 16, 1
	v_sub_f32_e32 v5, v74, v92
	v_cndmask_b32_e64 v8, v8, v10, s0
	v_cmp_u_f32_e64 s0, v1, v1
	v_add3_u32 v1, v12, v2, 0x7fff
	v_or_b32_e32 v10, 0x400000, v2
	v_add3_u32 v0, v0, v3, 0x7fff
	v_bfe_u32 v12, v4, 16, 1
	v_cndmask_b32_e64 v9, v9, v11, s0
	v_cmp_u_f32_e64 s0, v2, v2
	v_or_b32_e32 v11, 0x400000, v3
	v_sub_f32_e32 v6, v75, v93
	v_mul_f32_e32 v5, s21, v5
	v_sub_f32_e32 v7, v65, v76
	v_cndmask_b32_e64 v10, v1, v10, s0
	v_cmp_u_f32_e64 s0, v3, v3
	v_or_b32_e32 v2, 0x400000, v4
	v_bfe_u32 v1, v5, 16, 1
	v_mul_f32_e32 v3, s21, v6
	v_mul_f32_e32 v6, s21, v7
	v_cndmask_b32_e64 v11, v0, v11, s0
	v_add3_u32 v0, v12, v4, 0x7fff
	s_clause 0x1
	buffer_load_dword v12, off, s[36:39], 0 offset:8
	buffer_load_dword v13, off, s[36:39], 0 offset:12
	v_cmp_u_f32_e64 s0, v4, v4
	v_add3_u32 v1, v1, v5, 0x7fff
	v_or_b32_e32 v7, 0x400000, v5
	v_bfe_u32 v4, v6, 16, 1
	v_mov_b32_e32 v15, 0
	v_cndmask_b32_e64 v2, v0, v2, s0
	v_bfe_u32 v0, v3, 16, 1
	v_cmp_u_f32_e64 s0, v5, v5
	v_add3_u32 v4, v4, v6, 0x7fff
	s_waitcnt vmcnt(0)
	v_or_b32_e32 v13, 0x400000, v6
	v_add3_u32 v5, v0, v3, 0x7fff
	v_cndmask_b32_e64 v7, v1, v7, s0
	v_cmp_u_f32_e64 s0, v3, v3
	v_perm_b32 v2, v7, v2, 0x7060302
	v_mov_b32_e32 v14, v12
	v_or_b32_e32 v12, 0x400000, v3
	v_lshlrev_b64 v[0:1], 4, v[14:15]
	v_cndmask_b32_e64 v3, v5, v12, s0
	v_cmp_u_f32_e64 s0, v6, v6
	v_cndmask_b32_e64 v6, v4, v13, s0
	v_add_co_u32 v4, s0, s18, v0
	v_add_co_ci_u32_e64 v5, null, s19, v1, s0
	v_perm_b32 v3, v6, v3, 0x7060302
	v_perm_b32 v1, v11, v10, 0x7060302
	;; [unrolled: 1-line block ×3, first 2 shown]
	global_store_dwordx4 v[4:5], v[0:3], off
	s_or_b32 exec_lo, exec_lo, s1
	s_and_saveexec_b32 s0, vcc_lo
	s_cbranch_execz .LBB38_55
.LBB38_64:
	v_sub_f32_e32 v0, v96, v109
	v_sub_f32_e32 v1, v94, v107
	;; [unrolled: 1-line block ×5, first 2 shown]
	v_mul_f32_e32 v0, s21, v0
	v_mul_f32_e32 v1, s21, v1
	;; [unrolled: 1-line block ×5, first 2 shown]
	v_bfe_u32 v8, v0, 16, 1
	v_bfe_u32 v9, v1, 16, 1
	v_or_b32_e32 v10, 0x400000, v0
	v_cmp_u_f32_e32 vcc_lo, v0, v0
	v_or_b32_e32 v11, 0x400000, v1
	v_add3_u32 v8, v8, v0, 0x7fff
	v_bfe_u32 v12, v2, 16, 1
	v_add3_u32 v9, v9, v1, 0x7fff
	v_bfe_u32 v0, v3, 16, 1
	v_sub_f32_e32 v5, v80, v100
	v_cndmask_b32_e32 v8, v8, v10, vcc_lo
	v_cmp_u_f32_e32 vcc_lo, v1, v1
	v_add3_u32 v1, v12, v2, 0x7fff
	v_or_b32_e32 v10, 0x400000, v2
	v_add3_u32 v0, v0, v3, 0x7fff
	v_bfe_u32 v12, v4, 16, 1
	v_cndmask_b32_e32 v9, v9, v11, vcc_lo
	v_cmp_u_f32_e32 vcc_lo, v2, v2
	v_or_b32_e32 v11, 0x400000, v3
	v_sub_f32_e32 v6, v86, v106
	v_mul_f32_e32 v5, s21, v5
	v_sub_f32_e32 v7, v77, v99
	v_cndmask_b32_e32 v10, v1, v10, vcc_lo
	v_cmp_u_f32_e32 vcc_lo, v3, v3
	v_or_b32_e32 v2, 0x400000, v4
	v_bfe_u32 v1, v5, 16, 1
	v_mul_f32_e32 v3, s21, v6
	v_mul_f32_e32 v6, s21, v7
	v_cndmask_b32_e32 v11, v0, v11, vcc_lo
	v_add3_u32 v0, v12, v4, 0x7fff
	s_clause 0x1
	buffer_load_dword v12, off, s[36:39], 0
	buffer_load_dword v13, off, s[36:39], 0 offset:4
	v_cmp_u_f32_e32 vcc_lo, v4, v4
	v_add3_u32 v1, v1, v5, 0x7fff
	v_or_b32_e32 v7, 0x400000, v5
	v_bfe_u32 v4, v6, 16, 1
	v_mov_b32_e32 v15, 0
	v_cndmask_b32_e32 v2, v0, v2, vcc_lo
	v_bfe_u32 v0, v3, 16, 1
	v_cmp_u_f32_e32 vcc_lo, v5, v5
	v_add3_u32 v4, v4, v6, 0x7fff
	s_waitcnt vmcnt(0)
	v_or_b32_e32 v13, 0x400000, v6
	v_add3_u32 v5, v0, v3, 0x7fff
	v_cndmask_b32_e32 v7, v1, v7, vcc_lo
	v_cmp_u_f32_e32 vcc_lo, v3, v3
	v_perm_b32 v2, v7, v2, 0x7060302
	v_mov_b32_e32 v14, v12
	v_or_b32_e32 v12, 0x400000, v3
	v_lshlrev_b64 v[0:1], 4, v[14:15]
	v_cndmask_b32_e32 v3, v5, v12, vcc_lo
	v_cmp_u_f32_e32 vcc_lo, v6, v6
	v_cndmask_b32_e32 v6, v4, v13, vcc_lo
	v_add_co_u32 v4, vcc_lo, s18, v0
	v_add_co_ci_u32_e64 v5, null, s19, v1, vcc_lo
	v_perm_b32 v3, v6, v3, 0x7060302
	v_perm_b32 v1, v11, v10, 0x7060302
	;; [unrolled: 1-line block ×3, first 2 shown]
	global_store_dwordx4 v[4:5], v[0:3], off
	s_endpgm
	.section	.rodata,"a",@progbits
	.p2align	6, 0x0
	.amdhsa_kernel _Z30fast_hadamard_transform_kernelI37fast_hadamard_transform_kernel_traitsILi256ELi15E14__hip_bfloat16EEv18HadamardParamsBase
		.amdhsa_group_segment_fixed_size 0
		.amdhsa_private_segment_fixed_size 144
		.amdhsa_kernarg_size 312
		.amdhsa_user_sgpr_count 6
		.amdhsa_user_sgpr_private_segment_buffer 1
		.amdhsa_user_sgpr_dispatch_ptr 0
		.amdhsa_user_sgpr_queue_ptr 0
		.amdhsa_user_sgpr_kernarg_segment_ptr 1
		.amdhsa_user_sgpr_dispatch_id 0
		.amdhsa_user_sgpr_flat_scratch_init 0
		.amdhsa_user_sgpr_private_segment_size 0
		.amdhsa_wavefront_size32 1
		.amdhsa_uses_dynamic_stack 0
		.amdhsa_system_sgpr_private_segment_wavefront_offset 1
		.amdhsa_system_sgpr_workgroup_id_x 1
		.amdhsa_system_sgpr_workgroup_id_y 0
		.amdhsa_system_sgpr_workgroup_id_z 0
		.amdhsa_system_sgpr_workgroup_info 0
		.amdhsa_system_vgpr_workitem_id 0
		.amdhsa_next_free_vgpr 256
		.amdhsa_next_free_sgpr 40
		.amdhsa_reserve_vcc 1
		.amdhsa_reserve_flat_scratch 0
		.amdhsa_float_round_mode_32 0
		.amdhsa_float_round_mode_16_64 0
		.amdhsa_float_denorm_mode_32 3
		.amdhsa_float_denorm_mode_16_64 3
		.amdhsa_dx10_clamp 1
		.amdhsa_ieee_mode 1
		.amdhsa_fp16_overflow 0
		.amdhsa_workgroup_processor_mode 1
		.amdhsa_memory_ordered 1
		.amdhsa_forward_progress 1
		.amdhsa_shared_vgpr_count 0
		.amdhsa_exception_fp_ieee_invalid_op 0
		.amdhsa_exception_fp_denorm_src 0
		.amdhsa_exception_fp_ieee_div_zero 0
		.amdhsa_exception_fp_ieee_overflow 0
		.amdhsa_exception_fp_ieee_underflow 0
		.amdhsa_exception_fp_ieee_inexact 0
		.amdhsa_exception_int_div_zero 0
	.end_amdhsa_kernel
	.section	.text._Z30fast_hadamard_transform_kernelI37fast_hadamard_transform_kernel_traitsILi256ELi15E14__hip_bfloat16EEv18HadamardParamsBase,"axG",@progbits,_Z30fast_hadamard_transform_kernelI37fast_hadamard_transform_kernel_traitsILi256ELi15E14__hip_bfloat16EEv18HadamardParamsBase,comdat
.Lfunc_end38:
	.size	_Z30fast_hadamard_transform_kernelI37fast_hadamard_transform_kernel_traitsILi256ELi15E14__hip_bfloat16EEv18HadamardParamsBase, .Lfunc_end38-_Z30fast_hadamard_transform_kernelI37fast_hadamard_transform_kernel_traitsILi256ELi15E14__hip_bfloat16EEv18HadamardParamsBase
                                        ; -- End function
	.set _Z30fast_hadamard_transform_kernelI37fast_hadamard_transform_kernel_traitsILi256ELi15E14__hip_bfloat16EEv18HadamardParamsBase.num_vgpr, 256
	.set _Z30fast_hadamard_transform_kernelI37fast_hadamard_transform_kernel_traitsILi256ELi15E14__hip_bfloat16EEv18HadamardParamsBase.num_agpr, 0
	.set _Z30fast_hadamard_transform_kernelI37fast_hadamard_transform_kernel_traitsILi256ELi15E14__hip_bfloat16EEv18HadamardParamsBase.numbered_sgpr, 40
	.set _Z30fast_hadamard_transform_kernelI37fast_hadamard_transform_kernel_traitsILi256ELi15E14__hip_bfloat16EEv18HadamardParamsBase.num_named_barrier, 0
	.set _Z30fast_hadamard_transform_kernelI37fast_hadamard_transform_kernel_traitsILi256ELi15E14__hip_bfloat16EEv18HadamardParamsBase.private_seg_size, 144
	.set _Z30fast_hadamard_transform_kernelI37fast_hadamard_transform_kernel_traitsILi256ELi15E14__hip_bfloat16EEv18HadamardParamsBase.uses_vcc, 1
	.set _Z30fast_hadamard_transform_kernelI37fast_hadamard_transform_kernel_traitsILi256ELi15E14__hip_bfloat16EEv18HadamardParamsBase.uses_flat_scratch, 0
	.set _Z30fast_hadamard_transform_kernelI37fast_hadamard_transform_kernel_traitsILi256ELi15E14__hip_bfloat16EEv18HadamardParamsBase.has_dyn_sized_stack, 0
	.set _Z30fast_hadamard_transform_kernelI37fast_hadamard_transform_kernel_traitsILi256ELi15E14__hip_bfloat16EEv18HadamardParamsBase.has_recursion, 0
	.set _Z30fast_hadamard_transform_kernelI37fast_hadamard_transform_kernel_traitsILi256ELi15E14__hip_bfloat16EEv18HadamardParamsBase.has_indirect_call, 0
	.section	.AMDGPU.csdata,"",@progbits
; Kernel info:
; codeLenInByte = 39836
; TotalNumSgprs: 42
; NumVgprs: 256
; ScratchSize: 144
; MemoryBound: 0
; FloatMode: 240
; IeeeMode: 1
; LDSByteSize: 0 bytes/workgroup (compile time only)
; SGPRBlocks: 0
; VGPRBlocks: 31
; NumSGPRsForWavesPerEU: 42
; NumVGPRsForWavesPerEU: 256
; Occupancy: 4
; WaveLimiterHint : 0
; COMPUTE_PGM_RSRC2:SCRATCH_EN: 1
; COMPUTE_PGM_RSRC2:USER_SGPR: 6
; COMPUTE_PGM_RSRC2:TRAP_HANDLER: 0
; COMPUTE_PGM_RSRC2:TGID_X_EN: 1
; COMPUTE_PGM_RSRC2:TGID_Y_EN: 0
; COMPUTE_PGM_RSRC2:TGID_Z_EN: 0
; COMPUTE_PGM_RSRC2:TIDIG_COMP_CNT: 0
	.section	.AMDGPU.gpr_maximums,"",@progbits
	.set amdgpu.max_num_vgpr, 0
	.set amdgpu.max_num_agpr, 0
	.set amdgpu.max_num_sgpr, 0
	.section	.AMDGPU.csdata,"",@progbits
	.type	__hip_cuid_29d9531376184c5f,@object ; @__hip_cuid_29d9531376184c5f
	.section	.bss,"aw",@nobits
	.globl	__hip_cuid_29d9531376184c5f
__hip_cuid_29d9531376184c5f:
	.byte	0                               ; 0x0
	.size	__hip_cuid_29d9531376184c5f, 1

	.ident	"AMD clang version 22.0.0git (https://github.com/RadeonOpenCompute/llvm-project roc-7.2.4 26084 f58b06dce1f9c15707c5f808fd002e18c2accf7e)"
	.section	".note.GNU-stack","",@progbits
	.addrsig
	.addrsig_sym __hip_cuid_29d9531376184c5f
	.amdgpu_metadata
---
amdhsa.kernels:
  - .args:
      - .offset:         0
        .size:           56
        .value_kind:     by_value
      - .offset:         56
        .size:           4
        .value_kind:     hidden_block_count_x
      - .offset:         60
        .size:           4
        .value_kind:     hidden_block_count_y
      - .offset:         64
        .size:           4
        .value_kind:     hidden_block_count_z
      - .offset:         68
        .size:           2
        .value_kind:     hidden_group_size_x
      - .offset:         70
        .size:           2
        .value_kind:     hidden_group_size_y
      - .offset:         72
        .size:           2
        .value_kind:     hidden_group_size_z
      - .offset:         74
        .size:           2
        .value_kind:     hidden_remainder_x
      - .offset:         76
        .size:           2
        .value_kind:     hidden_remainder_y
      - .offset:         78
        .size:           2
        .value_kind:     hidden_remainder_z
      - .offset:         96
        .size:           8
        .value_kind:     hidden_global_offset_x
      - .offset:         104
        .size:           8
        .value_kind:     hidden_global_offset_y
      - .offset:         112
        .size:           8
        .value_kind:     hidden_global_offset_z
      - .offset:         120
        .size:           2
        .value_kind:     hidden_grid_dims
    .group_segment_fixed_size: 0
    .kernarg_segment_align: 8
    .kernarg_segment_size: 312
    .language:       OpenCL C
    .language_version:
      - 2
      - 0
    .max_flat_workgroup_size: 1
    .name:           _Z30fast_hadamard_transform_kernelI37fast_hadamard_transform_kernel_traitsILi1ELi3EfEEv18HadamardParamsBase
    .private_segment_fixed_size: 0
    .sgpr_count:     23
    .sgpr_spill_count: 0
    .symbol:         _Z30fast_hadamard_transform_kernelI37fast_hadamard_transform_kernel_traitsILi1ELi3EfEEv18HadamardParamsBase.kd
    .uniform_work_group_size: 1
    .uses_dynamic_stack: false
    .vgpr_count:     14
    .vgpr_spill_count: 0
    .wavefront_size: 32
    .workgroup_processor_mode: 1
  - .args:
      - .offset:         0
        .size:           56
        .value_kind:     by_value
      - .offset:         56
        .size:           4
        .value_kind:     hidden_block_count_x
      - .offset:         60
        .size:           4
        .value_kind:     hidden_block_count_y
      - .offset:         64
        .size:           4
        .value_kind:     hidden_block_count_z
      - .offset:         68
        .size:           2
        .value_kind:     hidden_group_size_x
      - .offset:         70
        .size:           2
        .value_kind:     hidden_group_size_y
      - .offset:         72
        .size:           2
        .value_kind:     hidden_group_size_z
      - .offset:         74
        .size:           2
        .value_kind:     hidden_remainder_x
      - .offset:         76
        .size:           2
        .value_kind:     hidden_remainder_y
      - .offset:         78
        .size:           2
        .value_kind:     hidden_remainder_z
      - .offset:         96
        .size:           8
        .value_kind:     hidden_global_offset_x
      - .offset:         104
        .size:           8
        .value_kind:     hidden_global_offset_y
      - .offset:         112
        .size:           8
        .value_kind:     hidden_global_offset_z
      - .offset:         120
        .size:           2
        .value_kind:     hidden_grid_dims
    .group_segment_fixed_size: 0
    .kernarg_segment_align: 8
    .kernarg_segment_size: 312
    .language:       OpenCL C
    .language_version:
      - 2
      - 0
    .max_flat_workgroup_size: 2
    .name:           _Z30fast_hadamard_transform_kernelI37fast_hadamard_transform_kernel_traitsILi2ELi4EfEEv18HadamardParamsBase
    .private_segment_fixed_size: 0
    .sgpr_count:     18
    .sgpr_spill_count: 0
    .symbol:         _Z30fast_hadamard_transform_kernelI37fast_hadamard_transform_kernel_traitsILi2ELi4EfEEv18HadamardParamsBase.kd
    .uniform_work_group_size: 1
    .uses_dynamic_stack: false
    .vgpr_count:     21
    .vgpr_spill_count: 0
    .wavefront_size: 32
    .workgroup_processor_mode: 1
  - .args:
      - .offset:         0
        .size:           56
        .value_kind:     by_value
      - .offset:         56
        .size:           4
        .value_kind:     hidden_block_count_x
      - .offset:         60
        .size:           4
        .value_kind:     hidden_block_count_y
      - .offset:         64
        .size:           4
        .value_kind:     hidden_block_count_z
      - .offset:         68
        .size:           2
        .value_kind:     hidden_group_size_x
      - .offset:         70
        .size:           2
        .value_kind:     hidden_group_size_y
      - .offset:         72
        .size:           2
        .value_kind:     hidden_group_size_z
      - .offset:         74
        .size:           2
        .value_kind:     hidden_remainder_x
      - .offset:         76
        .size:           2
        .value_kind:     hidden_remainder_y
      - .offset:         78
        .size:           2
        .value_kind:     hidden_remainder_z
      - .offset:         96
        .size:           8
        .value_kind:     hidden_global_offset_x
      - .offset:         104
        .size:           8
        .value_kind:     hidden_global_offset_y
      - .offset:         112
        .size:           8
        .value_kind:     hidden_global_offset_z
      - .offset:         120
        .size:           2
        .value_kind:     hidden_grid_dims
    .group_segment_fixed_size: 0
    .kernarg_segment_align: 8
    .kernarg_segment_size: 312
    .language:       OpenCL C
    .language_version:
      - 2
      - 0
    .max_flat_workgroup_size: 4
    .name:           _Z30fast_hadamard_transform_kernelI37fast_hadamard_transform_kernel_traitsILi4ELi5EfEEv18HadamardParamsBase
    .private_segment_fixed_size: 0
    .sgpr_count:     18
    .sgpr_spill_count: 0
    .symbol:         _Z30fast_hadamard_transform_kernelI37fast_hadamard_transform_kernel_traitsILi4ELi5EfEEv18HadamardParamsBase.kd
    .uniform_work_group_size: 1
    .uses_dynamic_stack: false
    .vgpr_count:     21
    .vgpr_spill_count: 0
    .wavefront_size: 32
    .workgroup_processor_mode: 1
  - .args:
      - .offset:         0
        .size:           56
        .value_kind:     by_value
      - .offset:         56
        .size:           4
        .value_kind:     hidden_block_count_x
      - .offset:         60
        .size:           4
        .value_kind:     hidden_block_count_y
      - .offset:         64
        .size:           4
        .value_kind:     hidden_block_count_z
      - .offset:         68
        .size:           2
        .value_kind:     hidden_group_size_x
      - .offset:         70
        .size:           2
        .value_kind:     hidden_group_size_y
      - .offset:         72
        .size:           2
        .value_kind:     hidden_group_size_z
      - .offset:         74
        .size:           2
        .value_kind:     hidden_remainder_x
      - .offset:         76
        .size:           2
        .value_kind:     hidden_remainder_y
      - .offset:         78
        .size:           2
        .value_kind:     hidden_remainder_z
      - .offset:         96
        .size:           8
        .value_kind:     hidden_global_offset_x
      - .offset:         104
        .size:           8
        .value_kind:     hidden_global_offset_y
      - .offset:         112
        .size:           8
        .value_kind:     hidden_global_offset_z
      - .offset:         120
        .size:           2
        .value_kind:     hidden_grid_dims
    .group_segment_fixed_size: 0
    .kernarg_segment_align: 8
    .kernarg_segment_size: 312
    .language:       OpenCL C
    .language_version:
      - 2
      - 0
    .max_flat_workgroup_size: 8
    .name:           _Z30fast_hadamard_transform_kernelI37fast_hadamard_transform_kernel_traitsILi8ELi6EfEEv18HadamardParamsBase
    .private_segment_fixed_size: 0
    .sgpr_count:     18
    .sgpr_spill_count: 0
    .symbol:         _Z30fast_hadamard_transform_kernelI37fast_hadamard_transform_kernel_traitsILi8ELi6EfEEv18HadamardParamsBase.kd
    .uniform_work_group_size: 1
    .uses_dynamic_stack: false
    .vgpr_count:     23
    .vgpr_spill_count: 0
    .wavefront_size: 32
    .workgroup_processor_mode: 1
  - .args:
      - .offset:         0
        .size:           56
        .value_kind:     by_value
      - .offset:         56
        .size:           4
        .value_kind:     hidden_block_count_x
      - .offset:         60
        .size:           4
        .value_kind:     hidden_block_count_y
      - .offset:         64
        .size:           4
        .value_kind:     hidden_block_count_z
      - .offset:         68
        .size:           2
        .value_kind:     hidden_group_size_x
      - .offset:         70
        .size:           2
        .value_kind:     hidden_group_size_y
      - .offset:         72
        .size:           2
        .value_kind:     hidden_group_size_z
      - .offset:         74
        .size:           2
        .value_kind:     hidden_remainder_x
      - .offset:         76
        .size:           2
        .value_kind:     hidden_remainder_y
      - .offset:         78
        .size:           2
        .value_kind:     hidden_remainder_z
      - .offset:         96
        .size:           8
        .value_kind:     hidden_global_offset_x
      - .offset:         104
        .size:           8
        .value_kind:     hidden_global_offset_y
      - .offset:         112
        .size:           8
        .value_kind:     hidden_global_offset_z
      - .offset:         120
        .size:           2
        .value_kind:     hidden_grid_dims
    .group_segment_fixed_size: 0
    .kernarg_segment_align: 8
    .kernarg_segment_size: 312
    .language:       OpenCL C
    .language_version:
      - 2
      - 0
    .max_flat_workgroup_size: 16
    .name:           _Z30fast_hadamard_transform_kernelI37fast_hadamard_transform_kernel_traitsILi16ELi7EfEEv18HadamardParamsBase
    .private_segment_fixed_size: 0
    .sgpr_count:     18
    .sgpr_spill_count: 0
    .symbol:         _Z30fast_hadamard_transform_kernelI37fast_hadamard_transform_kernel_traitsILi16ELi7EfEEv18HadamardParamsBase.kd
    .uniform_work_group_size: 1
    .uses_dynamic_stack: false
    .vgpr_count:     23
    .vgpr_spill_count: 0
    .wavefront_size: 32
    .workgroup_processor_mode: 1
  - .args:
      - .offset:         0
        .size:           56
        .value_kind:     by_value
      - .offset:         56
        .size:           4
        .value_kind:     hidden_block_count_x
      - .offset:         60
        .size:           4
        .value_kind:     hidden_block_count_y
      - .offset:         64
        .size:           4
        .value_kind:     hidden_block_count_z
      - .offset:         68
        .size:           2
        .value_kind:     hidden_group_size_x
      - .offset:         70
        .size:           2
        .value_kind:     hidden_group_size_y
      - .offset:         72
        .size:           2
        .value_kind:     hidden_group_size_z
      - .offset:         74
        .size:           2
        .value_kind:     hidden_remainder_x
      - .offset:         76
        .size:           2
        .value_kind:     hidden_remainder_y
      - .offset:         78
        .size:           2
        .value_kind:     hidden_remainder_z
      - .offset:         96
        .size:           8
        .value_kind:     hidden_global_offset_x
      - .offset:         104
        .size:           8
        .value_kind:     hidden_global_offset_y
      - .offset:         112
        .size:           8
        .value_kind:     hidden_global_offset_z
      - .offset:         120
        .size:           2
        .value_kind:     hidden_grid_dims
    .group_segment_fixed_size: 0
    .kernarg_segment_align: 8
    .kernarg_segment_size: 312
    .language:       OpenCL C
    .language_version:
      - 2
      - 0
    .max_flat_workgroup_size: 32
    .name:           _Z30fast_hadamard_transform_kernelI37fast_hadamard_transform_kernel_traitsILi32ELi8EfEEv18HadamardParamsBase
    .private_segment_fixed_size: 0
    .sgpr_count:     18
    .sgpr_spill_count: 0
    .symbol:         _Z30fast_hadamard_transform_kernelI37fast_hadamard_transform_kernel_traitsILi32ELi8EfEEv18HadamardParamsBase.kd
    .uniform_work_group_size: 1
    .uses_dynamic_stack: false
    .vgpr_count:     22
    .vgpr_spill_count: 0
    .wavefront_size: 32
    .workgroup_processor_mode: 1
  - .args:
      - .offset:         0
        .size:           56
        .value_kind:     by_value
      - .offset:         56
        .size:           4
        .value_kind:     hidden_block_count_x
      - .offset:         60
        .size:           4
        .value_kind:     hidden_block_count_y
      - .offset:         64
        .size:           4
        .value_kind:     hidden_block_count_z
      - .offset:         68
        .size:           2
        .value_kind:     hidden_group_size_x
      - .offset:         70
        .size:           2
        .value_kind:     hidden_group_size_y
      - .offset:         72
        .size:           2
        .value_kind:     hidden_group_size_z
      - .offset:         74
        .size:           2
        .value_kind:     hidden_remainder_x
      - .offset:         76
        .size:           2
        .value_kind:     hidden_remainder_y
      - .offset:         78
        .size:           2
        .value_kind:     hidden_remainder_z
      - .offset:         96
        .size:           8
        .value_kind:     hidden_global_offset_x
      - .offset:         104
        .size:           8
        .value_kind:     hidden_global_offset_y
      - .offset:         112
        .size:           8
        .value_kind:     hidden_global_offset_z
      - .offset:         120
        .size:           2
        .value_kind:     hidden_grid_dims
    .group_segment_fixed_size: 0
    .kernarg_segment_align: 8
    .kernarg_segment_size: 312
    .language:       OpenCL C
    .language_version:
      - 2
      - 0
    .max_flat_workgroup_size: 32
    .name:           _Z30fast_hadamard_transform_kernelI37fast_hadamard_transform_kernel_traitsILi32ELi9EfEEv18HadamardParamsBase
    .private_segment_fixed_size: 0
    .sgpr_count:     18
    .sgpr_spill_count: 0
    .symbol:         _Z30fast_hadamard_transform_kernelI37fast_hadamard_transform_kernel_traitsILi32ELi9EfEEv18HadamardParamsBase.kd
    .uniform_work_group_size: 1
    .uses_dynamic_stack: false
    .vgpr_count:     34
    .vgpr_spill_count: 0
    .wavefront_size: 32
    .workgroup_processor_mode: 1
  - .args:
      - .offset:         0
        .size:           56
        .value_kind:     by_value
      - .offset:         56
        .size:           4
        .value_kind:     hidden_block_count_x
      - .offset:         60
        .size:           4
        .value_kind:     hidden_block_count_y
      - .offset:         64
        .size:           4
        .value_kind:     hidden_block_count_z
      - .offset:         68
        .size:           2
        .value_kind:     hidden_group_size_x
      - .offset:         70
        .size:           2
        .value_kind:     hidden_group_size_y
      - .offset:         72
        .size:           2
        .value_kind:     hidden_group_size_z
      - .offset:         74
        .size:           2
        .value_kind:     hidden_remainder_x
      - .offset:         76
        .size:           2
        .value_kind:     hidden_remainder_y
      - .offset:         78
        .size:           2
        .value_kind:     hidden_remainder_z
      - .offset:         96
        .size:           8
        .value_kind:     hidden_global_offset_x
      - .offset:         104
        .size:           8
        .value_kind:     hidden_global_offset_y
      - .offset:         112
        .size:           8
        .value_kind:     hidden_global_offset_z
      - .offset:         120
        .size:           2
        .value_kind:     hidden_grid_dims
      - .offset:         176
        .size:           4
        .value_kind:     hidden_dynamic_lds_size
    .group_segment_fixed_size: 0
    .kernarg_segment_align: 8
    .kernarg_segment_size: 312
    .language:       OpenCL C
    .language_version:
      - 2
      - 0
    .max_flat_workgroup_size: 128
    .name:           _Z30fast_hadamard_transform_kernelI37fast_hadamard_transform_kernel_traitsILi128ELi10EfEEv18HadamardParamsBase
    .private_segment_fixed_size: 0
    .sgpr_count:     19
    .sgpr_spill_count: 0
    .symbol:         _Z30fast_hadamard_transform_kernelI37fast_hadamard_transform_kernel_traitsILi128ELi10EfEEv18HadamardParamsBase.kd
    .uniform_work_group_size: 1
    .uses_dynamic_stack: false
    .vgpr_count:     24
    .vgpr_spill_count: 0
    .wavefront_size: 32
    .workgroup_processor_mode: 1
  - .args:
      - .offset:         0
        .size:           56
        .value_kind:     by_value
      - .offset:         56
        .size:           4
        .value_kind:     hidden_block_count_x
      - .offset:         60
        .size:           4
        .value_kind:     hidden_block_count_y
      - .offset:         64
        .size:           4
        .value_kind:     hidden_block_count_z
      - .offset:         68
        .size:           2
        .value_kind:     hidden_group_size_x
      - .offset:         70
        .size:           2
        .value_kind:     hidden_group_size_y
      - .offset:         72
        .size:           2
        .value_kind:     hidden_group_size_z
      - .offset:         74
        .size:           2
        .value_kind:     hidden_remainder_x
      - .offset:         76
        .size:           2
        .value_kind:     hidden_remainder_y
      - .offset:         78
        .size:           2
        .value_kind:     hidden_remainder_z
      - .offset:         96
        .size:           8
        .value_kind:     hidden_global_offset_x
      - .offset:         104
        .size:           8
        .value_kind:     hidden_global_offset_y
      - .offset:         112
        .size:           8
        .value_kind:     hidden_global_offset_z
      - .offset:         120
        .size:           2
        .value_kind:     hidden_grid_dims
      - .offset:         176
        .size:           4
        .value_kind:     hidden_dynamic_lds_size
    .group_segment_fixed_size: 0
    .kernarg_segment_align: 8
    .kernarg_segment_size: 312
    .language:       OpenCL C
    .language_version:
      - 2
      - 0
    .max_flat_workgroup_size: 256
    .name:           _Z30fast_hadamard_transform_kernelI37fast_hadamard_transform_kernel_traitsILi256ELi11EfEEv18HadamardParamsBase
    .private_segment_fixed_size: 0
    .sgpr_count:     19
    .sgpr_spill_count: 0
    .symbol:         _Z30fast_hadamard_transform_kernelI37fast_hadamard_transform_kernel_traitsILi256ELi11EfEEv18HadamardParamsBase.kd
    .uniform_work_group_size: 1
    .uses_dynamic_stack: false
    .vgpr_count:     24
    .vgpr_spill_count: 0
    .wavefront_size: 32
    .workgroup_processor_mode: 1
  - .args:
      - .offset:         0
        .size:           56
        .value_kind:     by_value
      - .offset:         56
        .size:           4
        .value_kind:     hidden_block_count_x
      - .offset:         60
        .size:           4
        .value_kind:     hidden_block_count_y
      - .offset:         64
        .size:           4
        .value_kind:     hidden_block_count_z
      - .offset:         68
        .size:           2
        .value_kind:     hidden_group_size_x
      - .offset:         70
        .size:           2
        .value_kind:     hidden_group_size_y
      - .offset:         72
        .size:           2
        .value_kind:     hidden_group_size_z
      - .offset:         74
        .size:           2
        .value_kind:     hidden_remainder_x
      - .offset:         76
        .size:           2
        .value_kind:     hidden_remainder_y
      - .offset:         78
        .size:           2
        .value_kind:     hidden_remainder_z
      - .offset:         96
        .size:           8
        .value_kind:     hidden_global_offset_x
      - .offset:         104
        .size:           8
        .value_kind:     hidden_global_offset_y
      - .offset:         112
        .size:           8
        .value_kind:     hidden_global_offset_z
      - .offset:         120
        .size:           2
        .value_kind:     hidden_grid_dims
      - .offset:         176
        .size:           4
        .value_kind:     hidden_dynamic_lds_size
    .group_segment_fixed_size: 0
    .kernarg_segment_align: 8
    .kernarg_segment_size: 312
    .language:       OpenCL C
    .language_version:
      - 2
      - 0
    .max_flat_workgroup_size: 256
    .name:           _Z30fast_hadamard_transform_kernelI37fast_hadamard_transform_kernel_traitsILi256ELi12EfEEv18HadamardParamsBase
    .private_segment_fixed_size: 0
    .sgpr_count:     22
    .sgpr_spill_count: 0
    .symbol:         _Z30fast_hadamard_transform_kernelI37fast_hadamard_transform_kernel_traitsILi256ELi12EfEEv18HadamardParamsBase.kd
    .uniform_work_group_size: 1
    .uses_dynamic_stack: false
    .vgpr_count:     36
    .vgpr_spill_count: 0
    .wavefront_size: 32
    .workgroup_processor_mode: 1
  - .args:
      - .offset:         0
        .size:           56
        .value_kind:     by_value
      - .offset:         56
        .size:           4
        .value_kind:     hidden_block_count_x
      - .offset:         60
        .size:           4
        .value_kind:     hidden_block_count_y
      - .offset:         64
        .size:           4
        .value_kind:     hidden_block_count_z
      - .offset:         68
        .size:           2
        .value_kind:     hidden_group_size_x
      - .offset:         70
        .size:           2
        .value_kind:     hidden_group_size_y
      - .offset:         72
        .size:           2
        .value_kind:     hidden_group_size_z
      - .offset:         74
        .size:           2
        .value_kind:     hidden_remainder_x
      - .offset:         76
        .size:           2
        .value_kind:     hidden_remainder_y
      - .offset:         78
        .size:           2
        .value_kind:     hidden_remainder_z
      - .offset:         96
        .size:           8
        .value_kind:     hidden_global_offset_x
      - .offset:         104
        .size:           8
        .value_kind:     hidden_global_offset_y
      - .offset:         112
        .size:           8
        .value_kind:     hidden_global_offset_z
      - .offset:         120
        .size:           2
        .value_kind:     hidden_grid_dims
      - .offset:         176
        .size:           4
        .value_kind:     hidden_dynamic_lds_size
    .group_segment_fixed_size: 0
    .kernarg_segment_align: 8
    .kernarg_segment_size: 312
    .language:       OpenCL C
    .language_version:
      - 2
      - 0
    .max_flat_workgroup_size: 256
    .name:           _Z30fast_hadamard_transform_kernelI37fast_hadamard_transform_kernel_traitsILi256ELi13EfEEv18HadamardParamsBase
    .private_segment_fixed_size: 0
    .sgpr_count:     26
    .sgpr_spill_count: 0
    .symbol:         _Z30fast_hadamard_transform_kernelI37fast_hadamard_transform_kernel_traitsILi256ELi13EfEEv18HadamardParamsBase.kd
    .uniform_work_group_size: 1
    .uses_dynamic_stack: false
    .vgpr_count:     70
    .vgpr_spill_count: 0
    .wavefront_size: 32
    .workgroup_processor_mode: 1
  - .args:
      - .offset:         0
        .size:           56
        .value_kind:     by_value
      - .offset:         56
        .size:           4
        .value_kind:     hidden_block_count_x
      - .offset:         60
        .size:           4
        .value_kind:     hidden_block_count_y
      - .offset:         64
        .size:           4
        .value_kind:     hidden_block_count_z
      - .offset:         68
        .size:           2
        .value_kind:     hidden_group_size_x
      - .offset:         70
        .size:           2
        .value_kind:     hidden_group_size_y
      - .offset:         72
        .size:           2
        .value_kind:     hidden_group_size_z
      - .offset:         74
        .size:           2
        .value_kind:     hidden_remainder_x
      - .offset:         76
        .size:           2
        .value_kind:     hidden_remainder_y
      - .offset:         78
        .size:           2
        .value_kind:     hidden_remainder_z
      - .offset:         96
        .size:           8
        .value_kind:     hidden_global_offset_x
      - .offset:         104
        .size:           8
        .value_kind:     hidden_global_offset_y
      - .offset:         112
        .size:           8
        .value_kind:     hidden_global_offset_z
      - .offset:         120
        .size:           2
        .value_kind:     hidden_grid_dims
      - .offset:         176
        .size:           4
        .value_kind:     hidden_dynamic_lds_size
    .group_segment_fixed_size: 0
    .kernarg_segment_align: 8
    .kernarg_segment_size: 312
    .language:       OpenCL C
    .language_version:
      - 2
      - 0
    .max_flat_workgroup_size: 256
    .name:           _Z30fast_hadamard_transform_kernelI37fast_hadamard_transform_kernel_traitsILi256ELi14EfEEv18HadamardParamsBase
    .private_segment_fixed_size: 0
    .sgpr_count:     32
    .sgpr_spill_count: 0
    .symbol:         _Z30fast_hadamard_transform_kernelI37fast_hadamard_transform_kernel_traitsILi256ELi14EfEEv18HadamardParamsBase.kd
    .uniform_work_group_size: 1
    .uses_dynamic_stack: false
    .vgpr_count:     152
    .vgpr_spill_count: 0
    .wavefront_size: 32
    .workgroup_processor_mode: 1
  - .args:
      - .offset:         0
        .size:           56
        .value_kind:     by_value
      - .offset:         56
        .size:           4
        .value_kind:     hidden_block_count_x
      - .offset:         60
        .size:           4
        .value_kind:     hidden_block_count_y
      - .offset:         64
        .size:           4
        .value_kind:     hidden_block_count_z
      - .offset:         68
        .size:           2
        .value_kind:     hidden_group_size_x
      - .offset:         70
        .size:           2
        .value_kind:     hidden_group_size_y
      - .offset:         72
        .size:           2
        .value_kind:     hidden_group_size_z
      - .offset:         74
        .size:           2
        .value_kind:     hidden_remainder_x
      - .offset:         76
        .size:           2
        .value_kind:     hidden_remainder_y
      - .offset:         78
        .size:           2
        .value_kind:     hidden_remainder_z
      - .offset:         96
        .size:           8
        .value_kind:     hidden_global_offset_x
      - .offset:         104
        .size:           8
        .value_kind:     hidden_global_offset_y
      - .offset:         112
        .size:           8
        .value_kind:     hidden_global_offset_z
      - .offset:         120
        .size:           2
        .value_kind:     hidden_grid_dims
      - .offset:         176
        .size:           4
        .value_kind:     hidden_dynamic_lds_size
    .group_segment_fixed_size: 0
    .kernarg_segment_align: 8
    .kernarg_segment_size: 312
    .language:       OpenCL C
    .language_version:
      - 2
      - 0
    .max_flat_workgroup_size: 256
    .name:           _Z30fast_hadamard_transform_kernelI37fast_hadamard_transform_kernel_traitsILi256ELi15EfEEv18HadamardParamsBase
    .private_segment_fixed_size: 284
    .sgpr_count:     58
    .sgpr_spill_count: 0
    .symbol:         _Z30fast_hadamard_transform_kernelI37fast_hadamard_transform_kernel_traitsILi256ELi15EfEEv18HadamardParamsBase.kd
    .uniform_work_group_size: 1
    .uses_dynamic_stack: false
    .vgpr_count:     256
    .vgpr_spill_count: 72
    .wavefront_size: 32
    .workgroup_processor_mode: 1
  - .args:
      - .offset:         0
        .size:           56
        .value_kind:     by_value
    .group_segment_fixed_size: 0
    .kernarg_segment_align: 8
    .kernarg_segment_size: 56
    .language:       OpenCL C
    .language_version:
      - 2
      - 0
    .max_flat_workgroup_size: 1
    .name:           _Z30fast_hadamard_transform_kernelI37fast_hadamard_transform_kernel_traitsILi1ELi3E6__halfEEv18HadamardParamsBase
    .private_segment_fixed_size: 0
    .sgpr_count:     14
    .sgpr_spill_count: 0
    .symbol:         _Z30fast_hadamard_transform_kernelI37fast_hadamard_transform_kernel_traitsILi1ELi3E6__halfEEv18HadamardParamsBase.kd
    .uniform_work_group_size: 1
    .uses_dynamic_stack: false
    .vgpr_count:     12
    .vgpr_spill_count: 0
    .wavefront_size: 32
    .workgroup_processor_mode: 1
  - .args:
      - .offset:         0
        .size:           56
        .value_kind:     by_value
    .group_segment_fixed_size: 0
    .kernarg_segment_align: 8
    .kernarg_segment_size: 56
    .language:       OpenCL C
    .language_version:
      - 2
      - 0
    .max_flat_workgroup_size: 2
    .name:           _Z30fast_hadamard_transform_kernelI37fast_hadamard_transform_kernel_traitsILi2ELi4E6__halfEEv18HadamardParamsBase
    .private_segment_fixed_size: 0
    .sgpr_count:     13
    .sgpr_spill_count: 0
    .symbol:         _Z30fast_hadamard_transform_kernelI37fast_hadamard_transform_kernel_traitsILi2ELi4E6__halfEEv18HadamardParamsBase.kd
    .uniform_work_group_size: 1
    .uses_dynamic_stack: false
    .vgpr_count:     18
    .vgpr_spill_count: 0
    .wavefront_size: 32
    .workgroup_processor_mode: 1
  - .args:
      - .offset:         0
        .size:           56
        .value_kind:     by_value
    .group_segment_fixed_size: 0
    .kernarg_segment_align: 8
    .kernarg_segment_size: 56
    .language:       OpenCL C
    .language_version:
      - 2
      - 0
    .max_flat_workgroup_size: 4
    .name:           _Z30fast_hadamard_transform_kernelI37fast_hadamard_transform_kernel_traitsILi4ELi5E6__halfEEv18HadamardParamsBase
    .private_segment_fixed_size: 0
    .sgpr_count:     14
    .sgpr_spill_count: 0
    .symbol:         _Z30fast_hadamard_transform_kernelI37fast_hadamard_transform_kernel_traitsILi4ELi5E6__halfEEv18HadamardParamsBase.kd
    .uniform_work_group_size: 1
    .uses_dynamic_stack: false
    .vgpr_count:     23
    .vgpr_spill_count: 0
    .wavefront_size: 32
    .workgroup_processor_mode: 1
  - .args:
      - .offset:         0
        .size:           56
        .value_kind:     by_value
    .group_segment_fixed_size: 0
    .kernarg_segment_align: 8
    .kernarg_segment_size: 56
    .language:       OpenCL C
    .language_version:
      - 2
      - 0
    .max_flat_workgroup_size: 8
    .name:           _Z30fast_hadamard_transform_kernelI37fast_hadamard_transform_kernel_traitsILi8ELi6E6__halfEEv18HadamardParamsBase
    .private_segment_fixed_size: 0
    .sgpr_count:     14
    .sgpr_spill_count: 0
    .symbol:         _Z30fast_hadamard_transform_kernelI37fast_hadamard_transform_kernel_traitsILi8ELi6E6__halfEEv18HadamardParamsBase.kd
    .uniform_work_group_size: 1
    .uses_dynamic_stack: false
    .vgpr_count:     23
    .vgpr_spill_count: 0
    .wavefront_size: 32
    .workgroup_processor_mode: 1
  - .args:
      - .offset:         0
        .size:           56
        .value_kind:     by_value
    .group_segment_fixed_size: 0
    .kernarg_segment_align: 8
    .kernarg_segment_size: 56
    .language:       OpenCL C
    .language_version:
      - 2
      - 0
    .max_flat_workgroup_size: 16
    .name:           _Z30fast_hadamard_transform_kernelI37fast_hadamard_transform_kernel_traitsILi16ELi7E6__halfEEv18HadamardParamsBase
    .private_segment_fixed_size: 0
    .sgpr_count:     14
    .sgpr_spill_count: 0
    .symbol:         _Z30fast_hadamard_transform_kernelI37fast_hadamard_transform_kernel_traitsILi16ELi7E6__halfEEv18HadamardParamsBase.kd
    .uniform_work_group_size: 1
    .uses_dynamic_stack: false
    .vgpr_count:     22
    .vgpr_spill_count: 0
    .wavefront_size: 32
    .workgroup_processor_mode: 1
  - .args:
      - .offset:         0
        .size:           56
        .value_kind:     by_value
    .group_segment_fixed_size: 0
    .kernarg_segment_align: 8
    .kernarg_segment_size: 56
    .language:       OpenCL C
    .language_version:
      - 2
      - 0
    .max_flat_workgroup_size: 32
    .name:           _Z30fast_hadamard_transform_kernelI37fast_hadamard_transform_kernel_traitsILi32ELi8E6__halfEEv18HadamardParamsBase
    .private_segment_fixed_size: 0
    .sgpr_count:     14
    .sgpr_spill_count: 0
    .symbol:         _Z30fast_hadamard_transform_kernelI37fast_hadamard_transform_kernel_traitsILi32ELi8E6__halfEEv18HadamardParamsBase.kd
    .uniform_work_group_size: 1
    .uses_dynamic_stack: false
    .vgpr_count:     21
    .vgpr_spill_count: 0
    .wavefront_size: 32
    .workgroup_processor_mode: 1
  - .args:
      - .offset:         0
        .size:           56
        .value_kind:     by_value
      - .offset:         56
        .size:           4
        .value_kind:     hidden_block_count_x
      - .offset:         60
        .size:           4
        .value_kind:     hidden_block_count_y
      - .offset:         64
        .size:           4
        .value_kind:     hidden_block_count_z
      - .offset:         68
        .size:           2
        .value_kind:     hidden_group_size_x
      - .offset:         70
        .size:           2
        .value_kind:     hidden_group_size_y
      - .offset:         72
        .size:           2
        .value_kind:     hidden_group_size_z
      - .offset:         74
        .size:           2
        .value_kind:     hidden_remainder_x
      - .offset:         76
        .size:           2
        .value_kind:     hidden_remainder_y
      - .offset:         78
        .size:           2
        .value_kind:     hidden_remainder_z
      - .offset:         96
        .size:           8
        .value_kind:     hidden_global_offset_x
      - .offset:         104
        .size:           8
        .value_kind:     hidden_global_offset_y
      - .offset:         112
        .size:           8
        .value_kind:     hidden_global_offset_z
      - .offset:         120
        .size:           2
        .value_kind:     hidden_grid_dims
    .group_segment_fixed_size: 0
    .kernarg_segment_align: 8
    .kernarg_segment_size: 312
    .language:       OpenCL C
    .language_version:
      - 2
      - 0
    .max_flat_workgroup_size: 32
    .name:           _Z30fast_hadamard_transform_kernelI37fast_hadamard_transform_kernel_traitsILi32ELi9E6__halfEEv18HadamardParamsBase
    .private_segment_fixed_size: 0
    .sgpr_count:     18
    .sgpr_spill_count: 0
    .symbol:         _Z30fast_hadamard_transform_kernelI37fast_hadamard_transform_kernel_traitsILi32ELi9E6__halfEEv18HadamardParamsBase.kd
    .uniform_work_group_size: 1
    .uses_dynamic_stack: false
    .vgpr_count:     39
    .vgpr_spill_count: 0
    .wavefront_size: 32
    .workgroup_processor_mode: 1
  - .args:
      - .offset:         0
        .size:           56
        .value_kind:     by_value
    .group_segment_fixed_size: 0
    .kernarg_segment_align: 8
    .kernarg_segment_size: 56
    .language:       OpenCL C
    .language_version:
      - 2
      - 0
    .max_flat_workgroup_size: 128
    .name:           _Z30fast_hadamard_transform_kernelI37fast_hadamard_transform_kernel_traitsILi128ELi10E6__halfEEv18HadamardParamsBase
    .private_segment_fixed_size: 0
    .sgpr_count:     13
    .sgpr_spill_count: 0
    .symbol:         _Z30fast_hadamard_transform_kernelI37fast_hadamard_transform_kernel_traitsILi128ELi10E6__halfEEv18HadamardParamsBase.kd
    .uniform_work_group_size: 1
    .uses_dynamic_stack: false
    .vgpr_count:     23
    .vgpr_spill_count: 0
    .wavefront_size: 32
    .workgroup_processor_mode: 1
  - .args:
      - .offset:         0
        .size:           56
        .value_kind:     by_value
    .group_segment_fixed_size: 0
    .kernarg_segment_align: 8
    .kernarg_segment_size: 56
    .language:       OpenCL C
    .language_version:
      - 2
      - 0
    .max_flat_workgroup_size: 256
    .name:           _Z30fast_hadamard_transform_kernelI37fast_hadamard_transform_kernel_traitsILi256ELi11E6__halfEEv18HadamardParamsBase
    .private_segment_fixed_size: 0
    .sgpr_count:     14
    .sgpr_spill_count: 0
    .symbol:         _Z30fast_hadamard_transform_kernelI37fast_hadamard_transform_kernel_traitsILi256ELi11E6__halfEEv18HadamardParamsBase.kd
    .uniform_work_group_size: 1
    .uses_dynamic_stack: false
    .vgpr_count:     24
    .vgpr_spill_count: 0
    .wavefront_size: 32
    .workgroup_processor_mode: 1
  - .args:
      - .offset:         0
        .size:           56
        .value_kind:     by_value
      - .offset:         56
        .size:           4
        .value_kind:     hidden_block_count_x
      - .offset:         60
        .size:           4
        .value_kind:     hidden_block_count_y
      - .offset:         64
        .size:           4
        .value_kind:     hidden_block_count_z
      - .offset:         68
        .size:           2
        .value_kind:     hidden_group_size_x
      - .offset:         70
        .size:           2
        .value_kind:     hidden_group_size_y
      - .offset:         72
        .size:           2
        .value_kind:     hidden_group_size_z
      - .offset:         74
        .size:           2
        .value_kind:     hidden_remainder_x
      - .offset:         76
        .size:           2
        .value_kind:     hidden_remainder_y
      - .offset:         78
        .size:           2
        .value_kind:     hidden_remainder_z
      - .offset:         96
        .size:           8
        .value_kind:     hidden_global_offset_x
      - .offset:         104
        .size:           8
        .value_kind:     hidden_global_offset_y
      - .offset:         112
        .size:           8
        .value_kind:     hidden_global_offset_z
      - .offset:         120
        .size:           2
        .value_kind:     hidden_grid_dims
      - .offset:         176
        .size:           4
        .value_kind:     hidden_dynamic_lds_size
    .group_segment_fixed_size: 0
    .kernarg_segment_align: 8
    .kernarg_segment_size: 312
    .language:       OpenCL C
    .language_version:
      - 2
      - 0
    .max_flat_workgroup_size: 256
    .name:           _Z30fast_hadamard_transform_kernelI37fast_hadamard_transform_kernel_traitsILi256ELi12E6__halfEEv18HadamardParamsBase
    .private_segment_fixed_size: 0
    .sgpr_count:     19
    .sgpr_spill_count: 0
    .symbol:         _Z30fast_hadamard_transform_kernelI37fast_hadamard_transform_kernel_traitsILi256ELi12E6__halfEEv18HadamardParamsBase.kd
    .uniform_work_group_size: 1
    .uses_dynamic_stack: false
    .vgpr_count:     34
    .vgpr_spill_count: 0
    .wavefront_size: 32
    .workgroup_processor_mode: 1
  - .args:
      - .offset:         0
        .size:           56
        .value_kind:     by_value
      - .offset:         56
        .size:           4
        .value_kind:     hidden_block_count_x
      - .offset:         60
        .size:           4
        .value_kind:     hidden_block_count_y
      - .offset:         64
        .size:           4
        .value_kind:     hidden_block_count_z
      - .offset:         68
        .size:           2
        .value_kind:     hidden_group_size_x
      - .offset:         70
        .size:           2
        .value_kind:     hidden_group_size_y
      - .offset:         72
        .size:           2
        .value_kind:     hidden_group_size_z
      - .offset:         74
        .size:           2
        .value_kind:     hidden_remainder_x
      - .offset:         76
        .size:           2
        .value_kind:     hidden_remainder_y
      - .offset:         78
        .size:           2
        .value_kind:     hidden_remainder_z
      - .offset:         96
        .size:           8
        .value_kind:     hidden_global_offset_x
      - .offset:         104
        .size:           8
        .value_kind:     hidden_global_offset_y
      - .offset:         112
        .size:           8
        .value_kind:     hidden_global_offset_z
      - .offset:         120
        .size:           2
        .value_kind:     hidden_grid_dims
      - .offset:         176
        .size:           4
        .value_kind:     hidden_dynamic_lds_size
    .group_segment_fixed_size: 0
    .kernarg_segment_align: 8
    .kernarg_segment_size: 312
    .language:       OpenCL C
    .language_version:
      - 2
      - 0
    .max_flat_workgroup_size: 256
    .name:           _Z30fast_hadamard_transform_kernelI37fast_hadamard_transform_kernel_traitsILi256ELi13E6__halfEEv18HadamardParamsBase
    .private_segment_fixed_size: 0
    .sgpr_count:     22
    .sgpr_spill_count: 0
    .symbol:         _Z30fast_hadamard_transform_kernelI37fast_hadamard_transform_kernel_traitsILi256ELi13E6__halfEEv18HadamardParamsBase.kd
    .uniform_work_group_size: 1
    .uses_dynamic_stack: false
    .vgpr_count:     62
    .vgpr_spill_count: 0
    .wavefront_size: 32
    .workgroup_processor_mode: 1
  - .args:
      - .offset:         0
        .size:           56
        .value_kind:     by_value
      - .offset:         56
        .size:           4
        .value_kind:     hidden_block_count_x
      - .offset:         60
        .size:           4
        .value_kind:     hidden_block_count_y
      - .offset:         64
        .size:           4
        .value_kind:     hidden_block_count_z
      - .offset:         68
        .size:           2
        .value_kind:     hidden_group_size_x
      - .offset:         70
        .size:           2
        .value_kind:     hidden_group_size_y
      - .offset:         72
        .size:           2
        .value_kind:     hidden_group_size_z
      - .offset:         74
        .size:           2
        .value_kind:     hidden_remainder_x
      - .offset:         76
        .size:           2
        .value_kind:     hidden_remainder_y
      - .offset:         78
        .size:           2
        .value_kind:     hidden_remainder_z
      - .offset:         96
        .size:           8
        .value_kind:     hidden_global_offset_x
      - .offset:         104
        .size:           8
        .value_kind:     hidden_global_offset_y
      - .offset:         112
        .size:           8
        .value_kind:     hidden_global_offset_z
      - .offset:         120
        .size:           2
        .value_kind:     hidden_grid_dims
      - .offset:         176
        .size:           4
        .value_kind:     hidden_dynamic_lds_size
    .group_segment_fixed_size: 0
    .kernarg_segment_align: 8
    .kernarg_segment_size: 312
    .language:       OpenCL C
    .language_version:
      - 2
      - 0
    .max_flat_workgroup_size: 256
    .name:           _Z30fast_hadamard_transform_kernelI37fast_hadamard_transform_kernel_traitsILi256ELi14E6__halfEEv18HadamardParamsBase
    .private_segment_fixed_size: 0
    .sgpr_count:     26
    .sgpr_spill_count: 0
    .symbol:         _Z30fast_hadamard_transform_kernelI37fast_hadamard_transform_kernel_traitsILi256ELi14E6__halfEEv18HadamardParamsBase.kd
    .uniform_work_group_size: 1
    .uses_dynamic_stack: false
    .vgpr_count:     138
    .vgpr_spill_count: 0
    .wavefront_size: 32
    .workgroup_processor_mode: 1
  - .args:
      - .offset:         0
        .size:           56
        .value_kind:     by_value
      - .offset:         56
        .size:           4
        .value_kind:     hidden_block_count_x
      - .offset:         60
        .size:           4
        .value_kind:     hidden_block_count_y
      - .offset:         64
        .size:           4
        .value_kind:     hidden_block_count_z
      - .offset:         68
        .size:           2
        .value_kind:     hidden_group_size_x
      - .offset:         70
        .size:           2
        .value_kind:     hidden_group_size_y
      - .offset:         72
        .size:           2
        .value_kind:     hidden_group_size_z
      - .offset:         74
        .size:           2
        .value_kind:     hidden_remainder_x
      - .offset:         76
        .size:           2
        .value_kind:     hidden_remainder_y
      - .offset:         78
        .size:           2
        .value_kind:     hidden_remainder_z
      - .offset:         96
        .size:           8
        .value_kind:     hidden_global_offset_x
      - .offset:         104
        .size:           8
        .value_kind:     hidden_global_offset_y
      - .offset:         112
        .size:           8
        .value_kind:     hidden_global_offset_z
      - .offset:         120
        .size:           2
        .value_kind:     hidden_grid_dims
      - .offset:         176
        .size:           4
        .value_kind:     hidden_dynamic_lds_size
    .group_segment_fixed_size: 0
    .kernarg_segment_align: 8
    .kernarg_segment_size: 312
    .language:       OpenCL C
    .language_version:
      - 2
      - 0
    .max_flat_workgroup_size: 256
    .name:           _Z30fast_hadamard_transform_kernelI37fast_hadamard_transform_kernel_traitsILi256ELi15E6__halfEEv18HadamardParamsBase
    .private_segment_fixed_size: 140
    .sgpr_count:     42
    .sgpr_spill_count: 0
    .symbol:         _Z30fast_hadamard_transform_kernelI37fast_hadamard_transform_kernel_traitsILi256ELi15E6__halfEEv18HadamardParamsBase.kd
    .uniform_work_group_size: 1
    .uses_dynamic_stack: false
    .vgpr_count:     256
    .vgpr_spill_count: 36
    .wavefront_size: 32
    .workgroup_processor_mode: 1
  - .args:
      - .offset:         0
        .size:           56
        .value_kind:     by_value
    .group_segment_fixed_size: 0
    .kernarg_segment_align: 8
    .kernarg_segment_size: 56
    .language:       OpenCL C
    .language_version:
      - 2
      - 0
    .max_flat_workgroup_size: 1
    .name:           _Z30fast_hadamard_transform_kernelI37fast_hadamard_transform_kernel_traitsILi1ELi3E14__hip_bfloat16EEv18HadamardParamsBase
    .private_segment_fixed_size: 0
    .sgpr_count:     19
    .sgpr_spill_count: 0
    .symbol:         _Z30fast_hadamard_transform_kernelI37fast_hadamard_transform_kernel_traitsILi1ELi3E14__hip_bfloat16EEv18HadamardParamsBase.kd
    .uniform_work_group_size: 1
    .uses_dynamic_stack: false
    .vgpr_count:     21
    .vgpr_spill_count: 0
    .wavefront_size: 32
    .workgroup_processor_mode: 1
  - .args:
      - .offset:         0
        .size:           56
        .value_kind:     by_value
    .group_segment_fixed_size: 0
    .kernarg_segment_align: 8
    .kernarg_segment_size: 56
    .language:       OpenCL C
    .language_version:
      - 2
      - 0
    .max_flat_workgroup_size: 2
    .name:           _Z30fast_hadamard_transform_kernelI37fast_hadamard_transform_kernel_traitsILi2ELi4E14__hip_bfloat16EEv18HadamardParamsBase
    .private_segment_fixed_size: 0
    .sgpr_count:     14
    .sgpr_spill_count: 0
    .symbol:         _Z30fast_hadamard_transform_kernelI37fast_hadamard_transform_kernel_traitsILi2ELi4E14__hip_bfloat16EEv18HadamardParamsBase.kd
    .uniform_work_group_size: 1
    .uses_dynamic_stack: false
    .vgpr_count:     18
    .vgpr_spill_count: 0
    .wavefront_size: 32
    .workgroup_processor_mode: 1
  - .args:
      - .offset:         0
        .size:           56
        .value_kind:     by_value
    .group_segment_fixed_size: 0
    .kernarg_segment_align: 8
    .kernarg_segment_size: 56
    .language:       OpenCL C
    .language_version:
      - 2
      - 0
    .max_flat_workgroup_size: 4
    .name:           _Z30fast_hadamard_transform_kernelI37fast_hadamard_transform_kernel_traitsILi4ELi5E14__hip_bfloat16EEv18HadamardParamsBase
    .private_segment_fixed_size: 0
    .sgpr_count:     14
    .sgpr_spill_count: 0
    .symbol:         _Z30fast_hadamard_transform_kernelI37fast_hadamard_transform_kernel_traitsILi4ELi5E14__hip_bfloat16EEv18HadamardParamsBase.kd
    .uniform_work_group_size: 1
    .uses_dynamic_stack: false
    .vgpr_count:     23
    .vgpr_spill_count: 0
    .wavefront_size: 32
    .workgroup_processor_mode: 1
  - .args:
      - .offset:         0
        .size:           56
        .value_kind:     by_value
    .group_segment_fixed_size: 0
    .kernarg_segment_align: 8
    .kernarg_segment_size: 56
    .language:       OpenCL C
    .language_version:
      - 2
      - 0
    .max_flat_workgroup_size: 8
    .name:           _Z30fast_hadamard_transform_kernelI37fast_hadamard_transform_kernel_traitsILi8ELi6E14__hip_bfloat16EEv18HadamardParamsBase
    .private_segment_fixed_size: 0
    .sgpr_count:     14
    .sgpr_spill_count: 0
    .symbol:         _Z30fast_hadamard_transform_kernelI37fast_hadamard_transform_kernel_traitsILi8ELi6E14__hip_bfloat16EEv18HadamardParamsBase.kd
    .uniform_work_group_size: 1
    .uses_dynamic_stack: false
    .vgpr_count:     21
    .vgpr_spill_count: 0
    .wavefront_size: 32
    .workgroup_processor_mode: 1
  - .args:
      - .offset:         0
        .size:           56
        .value_kind:     by_value
    .group_segment_fixed_size: 0
    .kernarg_segment_align: 8
    .kernarg_segment_size: 56
    .language:       OpenCL C
    .language_version:
      - 2
      - 0
    .max_flat_workgroup_size: 16
    .name:           _Z30fast_hadamard_transform_kernelI37fast_hadamard_transform_kernel_traitsILi16ELi7E14__hip_bfloat16EEv18HadamardParamsBase
    .private_segment_fixed_size: 0
    .sgpr_count:     14
    .sgpr_spill_count: 0
    .symbol:         _Z30fast_hadamard_transform_kernelI37fast_hadamard_transform_kernel_traitsILi16ELi7E14__hip_bfloat16EEv18HadamardParamsBase.kd
    .uniform_work_group_size: 1
    .uses_dynamic_stack: false
    .vgpr_count:     22
    .vgpr_spill_count: 0
    .wavefront_size: 32
    .workgroup_processor_mode: 1
  - .args:
      - .offset:         0
        .size:           56
        .value_kind:     by_value
    .group_segment_fixed_size: 0
    .kernarg_segment_align: 8
    .kernarg_segment_size: 56
    .language:       OpenCL C
    .language_version:
      - 2
      - 0
    .max_flat_workgroup_size: 32
    .name:           _Z30fast_hadamard_transform_kernelI37fast_hadamard_transform_kernel_traitsILi32ELi8E14__hip_bfloat16EEv18HadamardParamsBase
    .private_segment_fixed_size: 0
    .sgpr_count:     14
    .sgpr_spill_count: 0
    .symbol:         _Z30fast_hadamard_transform_kernelI37fast_hadamard_transform_kernel_traitsILi32ELi8E14__hip_bfloat16EEv18HadamardParamsBase.kd
    .uniform_work_group_size: 1
    .uses_dynamic_stack: false
    .vgpr_count:     22
    .vgpr_spill_count: 0
    .wavefront_size: 32
    .workgroup_processor_mode: 1
  - .args:
      - .offset:         0
        .size:           56
        .value_kind:     by_value
      - .offset:         56
        .size:           4
        .value_kind:     hidden_block_count_x
      - .offset:         60
        .size:           4
        .value_kind:     hidden_block_count_y
      - .offset:         64
        .size:           4
        .value_kind:     hidden_block_count_z
      - .offset:         68
        .size:           2
        .value_kind:     hidden_group_size_x
      - .offset:         70
        .size:           2
        .value_kind:     hidden_group_size_y
      - .offset:         72
        .size:           2
        .value_kind:     hidden_group_size_z
      - .offset:         74
        .size:           2
        .value_kind:     hidden_remainder_x
      - .offset:         76
        .size:           2
        .value_kind:     hidden_remainder_y
      - .offset:         78
        .size:           2
        .value_kind:     hidden_remainder_z
      - .offset:         96
        .size:           8
        .value_kind:     hidden_global_offset_x
      - .offset:         104
        .size:           8
        .value_kind:     hidden_global_offset_y
      - .offset:         112
        .size:           8
        .value_kind:     hidden_global_offset_z
      - .offset:         120
        .size:           2
        .value_kind:     hidden_grid_dims
    .group_segment_fixed_size: 0
    .kernarg_segment_align: 8
    .kernarg_segment_size: 312
    .language:       OpenCL C
    .language_version:
      - 2
      - 0
    .max_flat_workgroup_size: 32
    .name:           _Z30fast_hadamard_transform_kernelI37fast_hadamard_transform_kernel_traitsILi32ELi9E14__hip_bfloat16EEv18HadamardParamsBase
    .private_segment_fixed_size: 0
    .sgpr_count:     19
    .sgpr_spill_count: 0
    .symbol:         _Z30fast_hadamard_transform_kernelI37fast_hadamard_transform_kernel_traitsILi32ELi9E14__hip_bfloat16EEv18HadamardParamsBase.kd
    .uniform_work_group_size: 1
    .uses_dynamic_stack: false
    .vgpr_count:     39
    .vgpr_spill_count: 0
    .wavefront_size: 32
    .workgroup_processor_mode: 1
  - .args:
      - .offset:         0
        .size:           56
        .value_kind:     by_value
    .group_segment_fixed_size: 0
    .kernarg_segment_align: 8
    .kernarg_segment_size: 56
    .language:       OpenCL C
    .language_version:
      - 2
      - 0
    .max_flat_workgroup_size: 128
    .name:           _Z30fast_hadamard_transform_kernelI37fast_hadamard_transform_kernel_traitsILi128ELi10E14__hip_bfloat16EEv18HadamardParamsBase
    .private_segment_fixed_size: 0
    .sgpr_count:     13
    .sgpr_spill_count: 0
    .symbol:         _Z30fast_hadamard_transform_kernelI37fast_hadamard_transform_kernel_traitsILi128ELi10E14__hip_bfloat16EEv18HadamardParamsBase.kd
    .uniform_work_group_size: 1
    .uses_dynamic_stack: false
    .vgpr_count:     23
    .vgpr_spill_count: 0
    .wavefront_size: 32
    .workgroup_processor_mode: 1
  - .args:
      - .offset:         0
        .size:           56
        .value_kind:     by_value
    .group_segment_fixed_size: 0
    .kernarg_segment_align: 8
    .kernarg_segment_size: 56
    .language:       OpenCL C
    .language_version:
      - 2
      - 0
    .max_flat_workgroup_size: 256
    .name:           _Z30fast_hadamard_transform_kernelI37fast_hadamard_transform_kernel_traitsILi256ELi11E14__hip_bfloat16EEv18HadamardParamsBase
    .private_segment_fixed_size: 0
    .sgpr_count:     14
    .sgpr_spill_count: 0
    .symbol:         _Z30fast_hadamard_transform_kernelI37fast_hadamard_transform_kernel_traitsILi256ELi11E14__hip_bfloat16EEv18HadamardParamsBase.kd
    .uniform_work_group_size: 1
    .uses_dynamic_stack: false
    .vgpr_count:     24
    .vgpr_spill_count: 0
    .wavefront_size: 32
    .workgroup_processor_mode: 1
  - .args:
      - .offset:         0
        .size:           56
        .value_kind:     by_value
      - .offset:         56
        .size:           4
        .value_kind:     hidden_block_count_x
      - .offset:         60
        .size:           4
        .value_kind:     hidden_block_count_y
      - .offset:         64
        .size:           4
        .value_kind:     hidden_block_count_z
      - .offset:         68
        .size:           2
        .value_kind:     hidden_group_size_x
      - .offset:         70
        .size:           2
        .value_kind:     hidden_group_size_y
      - .offset:         72
        .size:           2
        .value_kind:     hidden_group_size_z
      - .offset:         74
        .size:           2
        .value_kind:     hidden_remainder_x
      - .offset:         76
        .size:           2
        .value_kind:     hidden_remainder_y
      - .offset:         78
        .size:           2
        .value_kind:     hidden_remainder_z
      - .offset:         96
        .size:           8
        .value_kind:     hidden_global_offset_x
      - .offset:         104
        .size:           8
        .value_kind:     hidden_global_offset_y
      - .offset:         112
        .size:           8
        .value_kind:     hidden_global_offset_z
      - .offset:         120
        .size:           2
        .value_kind:     hidden_grid_dims
      - .offset:         176
        .size:           4
        .value_kind:     hidden_dynamic_lds_size
    .group_segment_fixed_size: 0
    .kernarg_segment_align: 8
    .kernarg_segment_size: 312
    .language:       OpenCL C
    .language_version:
      - 2
      - 0
    .max_flat_workgroup_size: 256
    .name:           _Z30fast_hadamard_transform_kernelI37fast_hadamard_transform_kernel_traitsILi256ELi12E14__hip_bfloat16EEv18HadamardParamsBase
    .private_segment_fixed_size: 0
    .sgpr_count:     19
    .sgpr_spill_count: 0
    .symbol:         _Z30fast_hadamard_transform_kernelI37fast_hadamard_transform_kernel_traitsILi256ELi12E14__hip_bfloat16EEv18HadamardParamsBase.kd
    .uniform_work_group_size: 1
    .uses_dynamic_stack: false
    .vgpr_count:     34
    .vgpr_spill_count: 0
    .wavefront_size: 32
    .workgroup_processor_mode: 1
  - .args:
      - .offset:         0
        .size:           56
        .value_kind:     by_value
      - .offset:         56
        .size:           4
        .value_kind:     hidden_block_count_x
      - .offset:         60
        .size:           4
        .value_kind:     hidden_block_count_y
      - .offset:         64
        .size:           4
        .value_kind:     hidden_block_count_z
      - .offset:         68
        .size:           2
        .value_kind:     hidden_group_size_x
      - .offset:         70
        .size:           2
        .value_kind:     hidden_group_size_y
      - .offset:         72
        .size:           2
        .value_kind:     hidden_group_size_z
      - .offset:         74
        .size:           2
        .value_kind:     hidden_remainder_x
      - .offset:         76
        .size:           2
        .value_kind:     hidden_remainder_y
      - .offset:         78
        .size:           2
        .value_kind:     hidden_remainder_z
      - .offset:         96
        .size:           8
        .value_kind:     hidden_global_offset_x
      - .offset:         104
        .size:           8
        .value_kind:     hidden_global_offset_y
      - .offset:         112
        .size:           8
        .value_kind:     hidden_global_offset_z
      - .offset:         120
        .size:           2
        .value_kind:     hidden_grid_dims
      - .offset:         176
        .size:           4
        .value_kind:     hidden_dynamic_lds_size
    .group_segment_fixed_size: 0
    .kernarg_segment_align: 8
    .kernarg_segment_size: 312
    .language:       OpenCL C
    .language_version:
      - 2
      - 0
    .max_flat_workgroup_size: 256
    .name:           _Z30fast_hadamard_transform_kernelI37fast_hadamard_transform_kernel_traitsILi256ELi13E14__hip_bfloat16EEv18HadamardParamsBase
    .private_segment_fixed_size: 0
    .sgpr_count:     22
    .sgpr_spill_count: 0
    .symbol:         _Z30fast_hadamard_transform_kernelI37fast_hadamard_transform_kernel_traitsILi256ELi13E14__hip_bfloat16EEv18HadamardParamsBase.kd
    .uniform_work_group_size: 1
    .uses_dynamic_stack: false
    .vgpr_count:     62
    .vgpr_spill_count: 0
    .wavefront_size: 32
    .workgroup_processor_mode: 1
  - .args:
      - .offset:         0
        .size:           56
        .value_kind:     by_value
      - .offset:         56
        .size:           4
        .value_kind:     hidden_block_count_x
      - .offset:         60
        .size:           4
        .value_kind:     hidden_block_count_y
      - .offset:         64
        .size:           4
        .value_kind:     hidden_block_count_z
      - .offset:         68
        .size:           2
        .value_kind:     hidden_group_size_x
      - .offset:         70
        .size:           2
        .value_kind:     hidden_group_size_y
      - .offset:         72
        .size:           2
        .value_kind:     hidden_group_size_z
      - .offset:         74
        .size:           2
        .value_kind:     hidden_remainder_x
      - .offset:         76
        .size:           2
        .value_kind:     hidden_remainder_y
      - .offset:         78
        .size:           2
        .value_kind:     hidden_remainder_z
      - .offset:         96
        .size:           8
        .value_kind:     hidden_global_offset_x
      - .offset:         104
        .size:           8
        .value_kind:     hidden_global_offset_y
      - .offset:         112
        .size:           8
        .value_kind:     hidden_global_offset_z
      - .offset:         120
        .size:           2
        .value_kind:     hidden_grid_dims
      - .offset:         176
        .size:           4
        .value_kind:     hidden_dynamic_lds_size
    .group_segment_fixed_size: 0
    .kernarg_segment_align: 8
    .kernarg_segment_size: 312
    .language:       OpenCL C
    .language_version:
      - 2
      - 0
    .max_flat_workgroup_size: 256
    .name:           _Z30fast_hadamard_transform_kernelI37fast_hadamard_transform_kernel_traitsILi256ELi14E14__hip_bfloat16EEv18HadamardParamsBase
    .private_segment_fixed_size: 0
    .sgpr_count:     26
    .sgpr_spill_count: 0
    .symbol:         _Z30fast_hadamard_transform_kernelI37fast_hadamard_transform_kernel_traitsILi256ELi14E14__hip_bfloat16EEv18HadamardParamsBase.kd
    .uniform_work_group_size: 1
    .uses_dynamic_stack: false
    .vgpr_count:     138
    .vgpr_spill_count: 0
    .wavefront_size: 32
    .workgroup_processor_mode: 1
  - .args:
      - .offset:         0
        .size:           56
        .value_kind:     by_value
      - .offset:         56
        .size:           4
        .value_kind:     hidden_block_count_x
      - .offset:         60
        .size:           4
        .value_kind:     hidden_block_count_y
      - .offset:         64
        .size:           4
        .value_kind:     hidden_block_count_z
      - .offset:         68
        .size:           2
        .value_kind:     hidden_group_size_x
      - .offset:         70
        .size:           2
        .value_kind:     hidden_group_size_y
      - .offset:         72
        .size:           2
        .value_kind:     hidden_group_size_z
      - .offset:         74
        .size:           2
        .value_kind:     hidden_remainder_x
      - .offset:         76
        .size:           2
        .value_kind:     hidden_remainder_y
      - .offset:         78
        .size:           2
        .value_kind:     hidden_remainder_z
      - .offset:         96
        .size:           8
        .value_kind:     hidden_global_offset_x
      - .offset:         104
        .size:           8
        .value_kind:     hidden_global_offset_y
      - .offset:         112
        .size:           8
        .value_kind:     hidden_global_offset_z
      - .offset:         120
        .size:           2
        .value_kind:     hidden_grid_dims
      - .offset:         176
        .size:           4
        .value_kind:     hidden_dynamic_lds_size
    .group_segment_fixed_size: 0
    .kernarg_segment_align: 8
    .kernarg_segment_size: 312
    .language:       OpenCL C
    .language_version:
      - 2
      - 0
    .max_flat_workgroup_size: 256
    .name:           _Z30fast_hadamard_transform_kernelI37fast_hadamard_transform_kernel_traitsILi256ELi15E14__hip_bfloat16EEv18HadamardParamsBase
    .private_segment_fixed_size: 144
    .sgpr_count:     42
    .sgpr_spill_count: 0
    .symbol:         _Z30fast_hadamard_transform_kernelI37fast_hadamard_transform_kernel_traitsILi256ELi15E14__hip_bfloat16EEv18HadamardParamsBase.kd
    .uniform_work_group_size: 1
    .uses_dynamic_stack: false
    .vgpr_count:     256
    .vgpr_spill_count: 37
    .wavefront_size: 32
    .workgroup_processor_mode: 1
amdhsa.target:   amdgcn-amd-amdhsa--gfx1030
amdhsa.version:
  - 1
  - 2
...

	.end_amdgpu_metadata
